;; amdgpu-corpus repo=zjin-lcf/HeCBench kind=compiled arch=gfx906 opt=O3
	.amdgcn_target "amdgcn-amd-amdhsa--gfx906"
	.amdhsa_code_object_version 6
	.text
	.protected	_Z20calculateForceKernelP6atom_tidPKdS2_idiid ; -- Begin function _Z20calculateForceKernelP6atom_tidPKdS2_idiid
	.globl	_Z20calculateForceKernelP6atom_tidPKdS2_idiid
	.p2align	8
	.type	_Z20calculateForceKernelP6atom_tidPKdS2_idiid,@function
_Z20calculateForceKernelP6atom_tidPKdS2_idiid: ; @_Z20calculateForceKernelP6atom_tidPKdS2_idiid
; %bb.0:
	s_mov_b64 s[98:99], s[2:3]
	s_mov_b64 s[96:97], s[0:1]
	s_load_dword s0, s[4:5], 0x54
                                        ; implicit-def: $vgpr63 : SGPR spill to VGPR lane
	s_add_u32 s96, s96, s7
	v_writelane_b32 v63, s4, 0
	s_load_dword s87, s[4:5], 0x8
	s_addc_u32 s97, s97, 0
	s_waitcnt lgkmcnt(0)
	s_and_b32 s0, s0, 0xffff
	s_mul_i32 s6, s6, s0
	v_add_u32_e32 v17, s6, v0
	v_writelane_b32 v63, s5, 1
	v_cmp_gt_i32_e32 vcc, s87, v17
	s_and_saveexec_b64 s[0:1], vcc
	s_cbranch_execz .LBB0_155
; %bb.1:
	v_readlane_b32 s8, v63, 0
	v_readlane_b32 s9, v63, 1
	s_load_dwordx2 s[2:3], s[8:9], 0x0
	s_load_dwordx4 s[4:7], s[8:9], 0x10
	s_movk_i32 s0, 0x70
	v_add_u32_e32 v16, 1, v17
	s_waitcnt lgkmcnt(0)
	v_writelane_b32 v63, s4, 2
	v_writelane_b32 v63, s5, 3
	;; [unrolled: 1-line block ×5, first 2 shown]
	v_mov_b32_e32 v0, s2
	v_mov_b32_e32 v1, s3
	v_mad_i64_i32 v[24:25], s[0:1], v17, s0, v[0:1]
	v_writelane_b32 v63, s3, 7
	global_load_dwordx4 v[0:3], v[24:25], off offset:16
	s_waitcnt vmcnt(0)
	buffer_store_dword v0, off, s[96:99], 0 offset:32 ; 4-byte Folded Spill
	s_nop 0
	buffer_store_dword v1, off, s[96:99], 0 offset:36 ; 4-byte Folded Spill
	buffer_store_dword v2, off, s[96:99], 0 offset:40 ; 4-byte Folded Spill
	;; [unrolled: 1-line block ×3, first 2 shown]
	global_load_dwordx4 v[0:3], v[24:25], off
	s_waitcnt vmcnt(0)
	buffer_store_dword v0, off, s[96:99], 0 offset:48 ; 4-byte Folded Spill
	s_nop 0
	buffer_store_dword v1, off, s[96:99], 0 offset:52 ; 4-byte Folded Spill
	buffer_store_dword v2, off, s[96:99], 0 offset:56 ; 4-byte Folded Spill
	;; [unrolled: 1-line block ×3, first 2 shown]
	global_load_dwordx4 v[0:3], v[24:25], off offset:32
	s_waitcnt vmcnt(0)
	buffer_store_dword v0, off, s[96:99], 0 offset:64 ; 4-byte Folded Spill
	s_nop 0
	buffer_store_dword v1, off, s[96:99], 0 offset:68 ; 4-byte Folded Spill
	buffer_store_dword v2, off, s[96:99], 0 offset:72 ; 4-byte Folded Spill
	;; [unrolled: 1-line block ×3, first 2 shown]
	global_load_dwordx2 v[0:1], v[24:25], off offset:72
	s_waitcnt vmcnt(0)
	buffer_store_dword v0, off, s[96:99], 0 offset:8 ; 4-byte Folded Spill
	s_nop 0
	buffer_store_dword v1, off, s[96:99], 0 offset:12 ; 4-byte Folded Spill
	global_load_dwordx4 v[0:3], v[24:25], off offset:96
	s_waitcnt vmcnt(0)
	buffer_store_dword v0, off, s[96:99], 0 offset:80 ; 4-byte Folded Spill
	s_nop 0
	buffer_store_dword v1, off, s[96:99], 0 offset:84 ; 4-byte Folded Spill
	buffer_store_dword v2, off, s[96:99], 0 offset:88 ; 4-byte Folded Spill
	;; [unrolled: 1-line block ×3, first 2 shown]
	global_load_dwordx4 v[0:3], v[24:25], off offset:80
	s_waitcnt vmcnt(0)
	buffer_store_dword v0, off, s[96:99], 0 offset:96 ; 4-byte Folded Spill
	s_nop 0
	buffer_store_dword v1, off, s[96:99], 0 offset:100 ; 4-byte Folded Spill
	buffer_store_dword v2, off, s[96:99], 0 offset:104 ; 4-byte Folded Spill
	;; [unrolled: 1-line block ×3, first 2 shown]
	s_load_dword s44, s[8:9], 0x28
	s_load_dwordx2 s[36:37], s[8:9], 0x20
	s_waitcnt lgkmcnt(0)
	s_cmp_gt_u32 s44, 2
	s_cbranch_scc1 .LBB0_31
; %bb.2:
	v_add_u32_e32 v18, 1, v17
	v_mov_b32_e32 v28, 0
	v_mov_b32_e32 v30, 0
	;; [unrolled: 1-line block ×6, first 2 shown]
	v_cmp_gt_i32_e32 vcc, s87, v18
	s_and_saveexec_b64 s[4:5], vcc
	s_cbranch_execz .LBB0_24
; %bb.3:
	buffer_load_dword v0, off, s[96:99], 0 offset:8 ; 4-byte Folded Reload
	buffer_load_dword v1, off, s[96:99], 0 offset:12 ; 4-byte Folded Reload
	v_readlane_b32 s2, v63, 0
	v_readlane_b32 s3, v63, 1
	s_load_dwordx2 s[2:3], s[2:3], 0x0
	v_mov_b32_e32 v32, 0
	s_mov_b32 s26, 0
	s_mov_b32 s28, 0
	v_mov_b32_e32 v30, 0
	s_waitcnt lgkmcnt(0)
	v_mov_b32_e32 v35, s3
	v_mov_b32_e32 v28, 0
	;; [unrolled: 1-line block ×3, first 2 shown]
	s_mov_b64 s[24:25], 0
	s_movk_i32 s33, 0x70
	v_mov_b32_e32 v34, s2
	s_brev_b32 s27, 8
	v_mov_b32_e32 v19, 0x260
	s_mov_b32 s29, 0x40380000
	v_mov_b32_e32 v48, 0x100
	v_mov_b32_e32 v31, 0
	;; [unrolled: 1-line block ×4, first 2 shown]
	s_waitcnt vmcnt(0)
	v_cmp_eq_u32_e64 s[6:7], 0, v1
	v_cmp_ne_u32_e64 s[0:1], 0, v1
	s_branch .LBB0_8
.LBB0_4:                                ;   in Loop: Header=BB0_8 Depth=1
	s_or_b64 exec, exec, s[8:9]
.LBB0_5:                                ;   in Loop: Header=BB0_8 Depth=1
	s_or_b64 exec, exec, s[2:3]
.LBB0_6:                                ;   in Loop: Header=BB0_8 Depth=1
	s_or_b64 exec, exec, s[34:35]
.LBB0_7:                                ;   in Loop: Header=BB0_8 Depth=1
	s_or_b64 exec, exec, s[30:31]
	v_add_u32_e32 v18, 1, v18
	v_cmp_le_i32_e32 vcc, s87, v18
	s_or_b64 s[24:25], vcc, s[24:25]
	s_andn2_b64 exec, exec, s[24:25]
	s_cbranch_execz .LBB0_23
.LBB0_8:                                ; =>This Loop Header: Depth=1
                                        ;     Child Loop BB0_17 Depth 2
                                        ;     Child Loop BB0_19 Depth 2
	;; [unrolled: 1-line block ×3, first 2 shown]
	v_mad_i64_i32 v[36:37], s[2:3], v18, s33, v[34:35]
	global_load_dword v0, v[36:37], off offset:72
	buffer_load_dword v1, off, s[96:99], 0 offset:8 ; 4-byte Folded Reload
	buffer_load_dword v2, off, s[96:99], 0 offset:12 ; 4-byte Folded Reload
	s_waitcnt vmcnt(1)
	v_cmp_ne_u32_e32 vcc, v1, v0
	s_and_saveexec_b64 s[30:31], vcc
	s_cbranch_execz .LBB0_7
; %bb.9:                                ;   in Loop: Header=BB0_8 Depth=1
	s_mov_b64 s[2:3], s[6:7]
	s_and_saveexec_b64 s[8:9], s[0:1]
	s_cbranch_execz .LBB0_11
; %bb.10:                               ;   in Loop: Header=BB0_8 Depth=1
	global_load_dword v0, v[36:37], off offset:76
	s_andn2_b64 s[2:3], s[6:7], exec
	s_waitcnt vmcnt(0)
	v_cmp_eq_u32_e32 vcc, 0, v0
	s_and_b64 s[10:11], vcc, exec
	s_or_b64 s[2:3], s[2:3], s[10:11]
.LBB0_11:                               ;   in Loop: Header=BB0_8 Depth=1
	s_or_b64 exec, exec, s[8:9]
	s_and_saveexec_b64 s[34:35], s[2:3]
	s_cbranch_execz .LBB0_6
; %bb.12:                               ;   in Loop: Header=BB0_8 Depth=1
	global_load_dwordx4 v[12:15], v[36:37], off offset:24
	buffer_load_dword v0, off, s[96:99], 0 offset:32 ; 4-byte Folded Reload
	buffer_load_dword v1, off, s[96:99], 0 offset:36 ; 4-byte Folded Reload
	;; [unrolled: 1-line block ×8, first 2 shown]
	s_waitcnt vmcnt(2)
	v_cmp_neq_f64_e64 s[2:3], v[4:5], v[14:15]
	v_mul_f64 v[20:21], v[2:3], v[12:13]
	v_cmp_gt_f64_e32 vcc, s[26:27], v[20:21]
	v_cndmask_b32_e32 v0, 0, v48, vcc
	v_ldexp_f64 v[20:21], v[20:21], v0
	v_cndmask_b32_e32 v0, 0, v49, vcc
	v_rsq_f64_e32 v[22:23], v[20:21]
	v_cmp_class_f64_e32 vcc, v[20:21], v19
	v_mul_f64 v[38:39], v[20:21], v[22:23]
	v_mul_f64 v[22:23], v[22:23], 0.5
	v_fma_f64 v[40:41], -v[22:23], v[38:39], 0.5
	v_fma_f64 v[38:39], v[38:39], v[40:41], v[38:39]
	v_fma_f64 v[22:23], v[22:23], v[40:41], v[22:23]
	v_fma_f64 v[40:41], -v[38:39], v[38:39], v[20:21]
	v_fma_f64 v[38:39], v[40:41], v[22:23], v[38:39]
	v_fma_f64 v[40:41], -v[38:39], v[38:39], v[20:21]
	v_fma_f64 v[22:23], v[40:41], v[22:23], v[38:39]
	v_add_f64 v[38:39], v[4:5], v[14:15]
	v_ldexp_f64 v[22:23], v[22:23], v0
	v_mul_f64 v[38:39], v[38:39], 0.5
	v_cndmask_b32_e32 v0, v22, v20, vcc
	v_cndmask_b32_e32 v1, v23, v21, vcc
	v_cmp_neq_f64_e32 vcc, v[2:3], v[12:13]
	v_cndmask_b32_e64 v21, v5, v39, s[2:3]
	v_cndmask_b32_e64 v20, v4, v38, s[2:3]
	v_cndmask_b32_e32 v39, v3, v1, vcc
	v_cndmask_b32_e32 v38, v2, v0, vcc
	v_cmp_neq_f64_e32 vcc, 0, v[20:21]
	v_cmp_neq_f64_e64 s[2:3], 0, v[38:39]
	s_and_b64 s[8:9], vcc, s[2:3]
	s_and_saveexec_b64 s[2:3], s[8:9]
	s_cbranch_execz .LBB0_5
; %bb.13:                               ;   in Loop: Header=BB0_8 Depth=1
	global_load_dwordx4 v[40:43], v[36:37], off
	global_load_dwordx2 v[12:13], v[36:37], off offset:16
	buffer_load_dword v0, off, s[96:99], 0 offset:48 ; 4-byte Folded Reload
	buffer_load_dword v1, off, s[96:99], 0 offset:52 ; 4-byte Folded Reload
	buffer_load_dword v2, off, s[96:99], 0 offset:56 ; 4-byte Folded Reload
	buffer_load_dword v3, off, s[96:99], 0 offset:60 ; 4-byte Folded Reload
	s_load_dwordx16 s[8:23], s[36:37], 0x0
	s_waitcnt vmcnt(2)
	v_add_f64 v[14:15], v[0:1], -v[40:41]
	s_waitcnt vmcnt(0)
	v_add_f64 v[44:45], v[2:3], -v[42:43]
	buffer_load_dword v0, off, s[96:99], 0 offset:32 ; 4-byte Folded Reload
	buffer_load_dword v1, off, s[96:99], 0 offset:36 ; 4-byte Folded Reload
	;; [unrolled: 1-line block ×4, first 2 shown]
	s_load_dwordx2 s[38:39], s[36:37], 0x40
	s_waitcnt lgkmcnt(0)
	v_fma_f64 v[22:23], s[8:9], v[14:15], 0
	v_fma_f64 v[40:41], s[14:15], v[14:15], 0
	s_waitcnt vmcnt(2)
	v_add_f64 v[46:47], v[0:1], -v[12:13]
	v_fma_f64 v[12:13], s[10:11], v[44:45], v[22:23]
	v_fma_f64 v[22:23], s[16:17], v[44:45], v[40:41]
	;; [unrolled: 1-line block ×4, first 2 shown]
	v_readlane_b32 s12, v63, 0
	v_readlane_b32 s13, v63, 1
	s_load_dwordx4 s[8:11], s[12:13], 0x10
	v_fma_f64 v[22:23], s[18:19], v[46:47], v[22:23]
	v_fma_f64 v[40:41], s[22:23], v[44:45], v[40:41]
	v_rndne_f64_e32 v[12:13], v[12:13]
	s_waitcnt lgkmcnt(0)
	s_mov_b64 s[42:43], s[10:11]
	s_mov_b64 s[40:41], s[8:9]
	s_load_dwordx16 s[8:23], s[42:43], 0x0
	v_rndne_f64_e32 v[22:23], v[22:23]
	v_fma_f64 v[40:41], s[38:39], v[46:47], v[40:41]
	s_waitcnt lgkmcnt(0)
	v_fma_f64 v[42:43], s[14:15], v[12:13], 0
	v_fma_f64 v[50:51], s[8:9], v[12:13], 0
	;; [unrolled: 1-line block ×3, first 2 shown]
	s_load_dwordx2 s[8:9], s[42:43], 0x40
	v_rndne_f64_e32 v[40:41], v[40:41]
	v_fma_f64 v[42:43], s[16:17], v[22:23], v[42:43]
	v_fma_f64 v[50:51], s[10:11], v[22:23], v[50:51]
	;; [unrolled: 1-line block ×5, first 2 shown]
	s_waitcnt lgkmcnt(0)
	v_fma_f64 v[12:13], s[8:9], v[40:41], v[12:13]
	v_add_f64 v[42:43], v[44:45], -v[42:43]
	v_add_f64 v[22:23], v[14:15], -v[50:51]
	;; [unrolled: 1-line block ×3, first 2 shown]
	v_mul_f64 v[50:51], v[42:43], v[42:43]
	v_fma_f64 v[12:13], v[22:23], v[22:23], v[50:51]
	v_fma_f64 v[12:13], v[40:41], v[40:41], v[12:13]
	v_cmp_nle_f64_e32 vcc, 0, v[12:13]
	s_and_saveexec_b64 s[8:9], vcc
	s_cbranch_execz .LBB0_15
; %bb.14:                               ;   in Loop: Header=BB0_8 Depth=1
	v_mul_f64 v[12:13], v[44:45], v[44:45]
	v_mov_b32_e32 v40, v46
	v_mov_b32_e32 v42, v44
	;; [unrolled: 1-line block ×6, first 2 shown]
	v_fma_f64 v[12:13], v[14:15], v[14:15], v[12:13]
	v_fma_f64 v[12:13], v[46:47], v[46:47], v[12:13]
.LBB0_15:                               ;   in Loop: Header=BB0_8 Depth=1
	s_or_b64 exec, exec, s[8:9]
	v_cmp_gt_f64_e32 vcc, s[26:27], v[12:13]
	v_readlane_b32 s12, v63, 0
	v_readlane_b32 s13, v63, 1
	s_load_dwordx4 s[8:11], s[12:13], 0x10
	v_cndmask_b32_e32 v0, 0, v48, vcc
	v_ldexp_f64 v[14:15], v[12:13], v0
	v_cndmask_b32_e32 v0, 0, v49, vcc
	v_rsq_f64_e32 v[44:45], v[14:15]
	v_cmp_class_f64_e32 vcc, v[14:15], v19
	v_mul_f64 v[46:47], v[14:15], v[44:45]
	v_mul_f64 v[44:45], v[44:45], 0.5
	v_fma_f64 v[50:51], -v[44:45], v[46:47], 0.5
	v_fma_f64 v[46:47], v[46:47], v[50:51], v[46:47]
	v_fma_f64 v[44:45], v[44:45], v[50:51], v[44:45]
	v_fma_f64 v[50:51], -v[46:47], v[46:47], v[14:15]
	v_fma_f64 v[46:47], v[50:51], v[44:45], v[46:47]
	v_fma_f64 v[50:51], -v[46:47], v[46:47], v[14:15]
	v_fma_f64 v[44:45], v[50:51], v[44:45], v[46:47]
	v_ldexp_f64 v[44:45], v[44:45], v0
	v_cndmask_b32_e32 v15, v45, v15, vcc
	v_cndmask_b32_e32 v14, v44, v14, vcc
	s_waitcnt lgkmcnt(0)
	v_cmp_ge_f64_e32 vcc, s[8:9], v[14:15]
	s_and_saveexec_b64 s[8:9], vcc
	s_cbranch_execz .LBB0_4
; %bb.16:                               ;   in Loop: Header=BB0_8 Depth=1
	v_mul_f64 v[20:21], v[20:21], v[20:21]
	v_mul_f64 v[14:15], v[12:13], v[12:13]
	;; [unrolled: 1-line block ×9, first 2 shown]
	v_add_f64 v[44:45], v[44:45], v[44:45]
	v_div_scale_f64 v[14:15], s[10:11], v[12:13], v[12:13], v[20:21]
	v_div_scale_f64 v[50:51], s[10:11], v[46:47], v[46:47], v[44:45]
	s_mov_b64 s[10:11], 0
	v_rcp_f64_e32 v[52:53], v[50:51]
	v_fma_f64 v[54:55], -v[50:51], v[52:53], 1.0
	v_fma_f64 v[52:53], v[52:53], v[54:55], v[52:53]
	v_fma_f64 v[54:55], -v[50:51], v[52:53], 1.0
	v_fma_f64 v[52:53], v[52:53], v[54:55], v[52:53]
	v_div_scale_f64 v[54:55], vcc, v[44:45], v[46:47], v[44:45]
	v_mul_f64 v[56:57], v[54:55], v[52:53]
	v_fma_f64 v[50:51], -v[50:51], v[56:57], v[54:55]
	s_nop 1
	v_div_fmas_f64 v[50:51], v[50:51], v[52:53], v[56:57]
	v_div_fixup_f64 v[44:45], v[50:51], v[46:47], v[44:45]
	v_rcp_f64_e32 v[46:47], v[14:15]
	v_fma_f64 v[50:51], -v[14:15], v[46:47], 1.0
	v_fma_f64 v[46:47], v[46:47], v[50:51], v[46:47]
	v_fma_f64 v[50:51], -v[14:15], v[46:47], 1.0
	v_fma_f64 v[46:47], v[46:47], v[50:51], v[46:47]
	v_div_scale_f64 v[50:51], vcc, v[20:21], v[12:13], v[20:21]
	v_mul_f64 v[52:53], v[50:51], v[46:47]
	v_fma_f64 v[14:15], -v[14:15], v[52:53], v[50:51]
	s_nop 1
	v_div_fmas_f64 v[14:15], v[14:15], v[46:47], v[52:53]
	v_div_fixup_f64 v[12:13], v[14:15], v[12:13], v[20:21]
	v_add_f64 v[46:47], v[44:45], -v[12:13]
	v_mul_f64 v[12:13], v[22:23], s[28:29]
	global_load_dwordx2 v[22:23], v[36:37], off offset:48
	v_mul_f64 v[12:13], v[38:39], v[12:13]
	v_mul_f64 v[44:45], v[46:47], v[12:13]
.LBB0_17:                               ;   Parent Loop BB0_8 Depth=1
                                        ; =>  This Inner Loop Header: Depth=2
	s_waitcnt vmcnt(0)
	v_add_f64 v[20:21], v[22:23], -v[44:45]
	global_atomic_cmpswap_x2 v[12:13], v[36:37], v[20:23], off offset:48 glc
	s_waitcnt vmcnt(0)
	v_cmp_eq_u64_e32 vcc, v[12:13], v[22:23]
	v_mov_b32_e32 v23, v13
	s_or_b64 s[10:11], vcc, s[10:11]
	v_mov_b32_e32 v22, v12
	s_andn2_b64 exec, exec, s[10:11]
	s_cbranch_execnz .LBB0_17
; %bb.18:                               ;   in Loop: Header=BB0_8 Depth=1
	s_or_b64 exec, exec, s[10:11]
	global_load_dwordx2 v[22:23], v[36:37], off offset:56
	v_mul_f64 v[12:13], v[42:43], s[28:29]
	s_mov_b64 s[10:11], 0
	v_mul_f64 v[12:13], v[38:39], v[12:13]
	v_mul_f64 v[12:13], v[46:47], v[12:13]
.LBB0_19:                               ;   Parent Loop BB0_8 Depth=1
                                        ; =>  This Inner Loop Header: Depth=2
	s_waitcnt vmcnt(0)
	v_add_f64 v[20:21], v[22:23], -v[12:13]
	global_atomic_cmpswap_x2 v[14:15], v[36:37], v[20:23], off offset:56 glc
	s_waitcnt vmcnt(0)
	v_cmp_eq_u64_e32 vcc, v[14:15], v[22:23]
	v_mov_b32_e32 v23, v15
	s_or_b64 s[10:11], vcc, s[10:11]
	v_mov_b32_e32 v22, v14
	s_andn2_b64 exec, exec, s[10:11]
	s_cbranch_execnz .LBB0_19
; %bb.20:                               ;   in Loop: Header=BB0_8 Depth=1
	s_or_b64 exec, exec, s[10:11]
	global_load_dwordx2 v[22:23], v[36:37], off offset:64
	v_mul_f64 v[14:15], v[40:41], s[28:29]
	s_mov_b64 s[10:11], 0
	v_mul_f64 v[14:15], v[38:39], v[14:15]
	v_mul_f64 v[14:15], v[46:47], v[14:15]
.LBB0_21:                               ;   Parent Loop BB0_8 Depth=1
                                        ; =>  This Inner Loop Header: Depth=2
	s_waitcnt vmcnt(0)
	v_add_f64 v[20:21], v[22:23], -v[14:15]
	global_atomic_cmpswap_x2 v[20:21], v[36:37], v[20:23], off offset:64 glc
	s_waitcnt vmcnt(0)
	v_cmp_eq_u64_e32 vcc, v[20:21], v[22:23]
	v_mov_b32_e32 v23, v21
	s_or_b64 s[10:11], vcc, s[10:11]
	v_mov_b32_e32 v22, v20
	s_andn2_b64 exec, exec, s[10:11]
	s_cbranch_execnz .LBB0_21
; %bb.22:                               ;   in Loop: Header=BB0_8 Depth=1
	s_or_b64 exec, exec, s[10:11]
	v_add_f64 v[30:31], v[30:31], v[12:13]
	v_add_f64 v[32:33], v[32:33], v[44:45]
	;; [unrolled: 1-line block ×3, first 2 shown]
	s_branch .LBB0_4
.LBB0_23:
	s_or_b64 exec, exec, s[24:25]
.LBB0_24:
	s_or_b64 exec, exec, s[4:5]
	global_load_dwordx2 v[22:23], v[24:25], off offset:48
	s_mov_b64 s[0:1], 0
.LBB0_25:                               ; =>This Inner Loop Header: Depth=1
	s_waitcnt vmcnt(0)
	v_add_f64 v[20:21], v[22:23], v[32:33]
	global_atomic_cmpswap_x2 v[2:3], v[24:25], v[20:23], off offset:48 glc
	s_waitcnt vmcnt(0)
	v_cmp_eq_u64_e32 vcc, v[2:3], v[22:23]
	v_mov_b32_e32 v23, v3
	s_or_b64 s[0:1], vcc, s[0:1]
	v_mov_b32_e32 v22, v2
	s_andn2_b64 exec, exec, s[0:1]
	s_cbranch_execnz .LBB0_25
; %bb.26:
	s_or_b64 exec, exec, s[0:1]
	global_load_dwordx2 v[22:23], v[24:25], off offset:56
	s_mov_b64 s[0:1], 0
.LBB0_27:                               ; =>This Inner Loop Header: Depth=1
	s_waitcnt vmcnt(0)
	v_add_f64 v[20:21], v[22:23], v[30:31]
	global_atomic_cmpswap_x2 v[2:3], v[24:25], v[20:23], off offset:56 glc
	s_waitcnt vmcnt(0)
	v_cmp_eq_u64_e32 vcc, v[2:3], v[22:23]
	v_mov_b32_e32 v23, v3
	s_or_b64 s[0:1], vcc, s[0:1]
	v_mov_b32_e32 v22, v2
	s_andn2_b64 exec, exec, s[0:1]
	s_cbranch_execnz .LBB0_27
; %bb.28:
	;; [unrolled: 15-line block ×3, first 2 shown]
	s_or_b64 exec, exec, s[0:1]
.LBB0_31:
	s_add_i32 s0, s44, -1
	s_cmp_gt_u32 s0, 1
	buffer_store_dword v24, off, s[96:99], 0 ; 4-byte Folded Spill
	s_nop 0
	buffer_store_dword v25, off, s[96:99], 0 offset:4 ; 4-byte Folded Spill
	s_cbranch_scc1 .LBB0_125
; %bb.32:
	s_cmp_lt_i32 s87, 1
	s_cbranch_scc1 .LBB0_117
; %bb.33:
	v_writelane_b32 v63, s44, 8
	v_readlane_b32 s4, v63, 0
	v_readlane_b32 s5, v63, 1
	s_load_dwordx4 s[0:3], s[4:5], 0x10
	s_load_dwordx4 s[28:31], s[4:5], 0x30
	v_mov_b32_e32 v31, 0
	s_mov_b32 s46, 0x652b82fe
	s_mov_b32 s48, 0xfefa39ef
	s_waitcnt lgkmcnt(0)
	s_load_dwordx16 s[8:23], s[2:3], 0x0
	s_load_dwordx2 s[0:1], s[2:3], 0x40
	s_cmp_lg_u32 s31, 0
	s_mov_b32 s3, 0x402921fb
	s_mov_b32 s50, 0x3b39803f
	s_waitcnt lgkmcnt(0)
	v_mov_b32_e32 v2, s18
	v_mov_b32_e32 v3, s19
	v_mul_f64 v[2:3], s[22:23], v[2:3]
	v_mov_b32_e32 v9, s1
	v_mov_b32_e32 v8, s0
	;; [unrolled: 1-line block ×4, first 2 shown]
	s_mov_b32 s54, 0x6a5dcb37
	s_mov_b32 s56, 0x623fde64
	;; [unrolled: 1-line block ×3, first 2 shown]
	v_fma_f64 v[2:3], s[16:17], v[8:9], -v[2:3]
	v_mov_b32_e32 v8, s10
	v_mov_b32_e32 v9, s11
	v_mul_f64 v[12:13], s[0:1], v[8:9]
	s_mov_b32 s17, 0
	s_mov_b32 s60, 0x14761f6e
	;; [unrolled: 1-line block ×7, first 2 shown]
	v_fma_f64 v[12:13], s[22:23], v[14:15], -v[12:13]
	s_mov_b32 s74, 0
	s_mov_b32 s88, 0x54442d18
	;; [unrolled: 1-line block ×7, first 2 shown]
	v_mul_f64 v[12:13], s[14:15], v[12:13]
	s_mov_b32 s40, 0xa17f65f6
	s_mov_b32 s44, 0x16c16967
	;; [unrolled: 1-line block ×5, first 2 shown]
	v_mov_b32_e32 v33, 0
	v_mov_b32_e32 v32, 0
	v_fma_f64 v[2:3], s[8:9], v[2:3], v[12:13]
	v_mul_f64 v[12:13], s[18:19], v[14:15]
	s_mul_i32 s33, s30, s30
	v_mov_b32_e32 v29, 0
	s_mov_b32 s47, 0x3ff71547
	s_mov_b32 s49, 0xbfe62e42
	;; [unrolled: 1-line block ×5, first 2 shown]
	v_fma_f64 v[8:9], s[18:19], v[8:9], -v[12:13]
	s_mov_b32 s59, 0x3efa0199
	s_mov_b32 s61, 0x3f2a01a0
	;; [unrolled: 1-line block ×7, first 2 shown]
	v_fma_f64 v[2:3], s[20:21], v[8:9], v[2:3]
	s_mov_b32 s75, 0xc090cc00
	s_mov_b32 s89, 0x401921fb
	;; [unrolled: 1-line block ×7, first 2 shown]
	v_div_scale_f64 v[8:9], s[0:1], v[2:3], v[2:3], 1.0
	s_mov_b32 s81, 0xbff921fb
	s_mov_b32 s77, 0xbc91a626
	;; [unrolled: 1-line block ×12, first 2 shown]
	s_movk_i32 s31, 0x1f8
	v_mov_b32_e32 v37, 0xfca7ab0c
	v_rcp_f64_e32 v[12:13], v[8:9]
	v_mov_b32_e32 v38, 0x3e928af3
	v_mov_b32_e32 v39, 0x9037ab78
	;; [unrolled: 1-line block ×6, first 2 shown]
	s_mov_b32 s16, s17
	v_mov_b32_e32 v26, v17
	v_fma_f64 v[14:15], -v[8:9], v[12:13], 1.0
	v_fma_f64 v[12:13], v[12:13], v[14:15], v[12:13]
	v_fma_f64 v[14:15], -v[8:9], v[12:13], 1.0
	v_fma_f64 v[12:13], v[12:13], v[14:15], v[12:13]
	v_div_scale_f64 v[14:15], vcc, 1.0, v[2:3], 1.0
	v_mul_f64 v[18:19], v[14:15], v[12:13]
	v_fma_f64 v[8:9], -v[8:9], v[18:19], v[14:15]
	v_mov_b32_e32 v14, 0x7ff00000
	v_mov_b32_e32 v15, 0x7ff80000
	v_div_fmas_f64 v[8:9], v[8:9], v[12:13], v[18:19]
	v_div_fixup_f64 v[0:1], v[8:9], v[2:3], 1.0
	buffer_store_dword v0, off, s[96:99], 0 offset:112 ; 4-byte Folded Spill
	s_nop 0
	buffer_store_dword v1, off, s[96:99], 0 offset:116 ; 4-byte Folded Spill
	buffer_load_dword v0, off, s[96:99], 0 offset:8 ; 4-byte Folded Reload
	s_nop 0
	buffer_load_dword v1, off, s[96:99], 0 offset:12 ; 4-byte Folded Reload
	s_waitcnt vmcnt(0)
	v_cmp_ne_u32_e64 s[0:1], 0, v1
	buffer_load_dword v0, off, s[96:99], 0 offset:64 ; 4-byte Folded Reload
	buffer_load_dword v1, off, s[96:99], 0 offset:68 ; 4-byte Folded Reload
	buffer_load_dword v2, off, s[96:99], 0 offset:72 ; 4-byte Folded Reload
	buffer_load_dword v3, off, s[96:99], 0 offset:76 ; 4-byte Folded Reload
	v_writelane_b32 v63, s0, 9
	v_writelane_b32 v63, s1, 10
	s_waitcnt vmcnt(3)
	v_mov_b32_e32 v0, 0x37cfa789
	s_waitcnt vmcnt(2)
	v_mov_b32_e32 v1, 0xbe411663
	buffer_store_dword v0, off, s[96:99], 0 offset:120 ; 4-byte Folded Spill
	s_nop 0
	buffer_store_dword v1, off, s[96:99], 0 offset:124 ; 4-byte Folded Spill
	v_mov_b32_e32 v0, 0
	v_mov_b32_e32 v1, 0
	buffer_store_dword v0, off, s[96:99], 0 offset:16 ; 4-byte Folded Spill
	s_nop 0
	buffer_store_dword v1, off, s[96:99], 0 offset:20 ; 4-byte Folded Spill
	s_waitcnt vmcnt(4)
	v_cmp_neq_f64_e64 s[0:1], 0, v[2:3]
	v_cmp_eq_f64_e32 vcc, 0, v[2:3]
	v_mul_f64 v[2:3], s[28:29], 4.0
	v_writelane_b32 v63, s0, 11
	v_writelane_b32 v63, s1, 12
	s_cselect_b64 s[0:1], -1, 0
	v_writelane_b32 v63, s0, 13
	s_cmp_gt_i32 s30, -1
	v_writelane_b32 v63, s1, 14
	s_cselect_b64 s[0:1], -1, 0
	v_mul_f64 v[27:28], s[28:29], v[2:3]
	v_writelane_b32 v63, s0, 15
	v_writelane_b32 v63, s1, 16
	s_xor_b64 s[0:1], vcc, -1
	v_writelane_b32 v63, s0, 17
	v_writelane_b32 v63, s1, 18
	v_writelane_b32 v63, s2, 19
	s_sub_i32 s86, 0, s30
	s_mov_b32 s0, 0x555502a1
	v_writelane_b32 v63, s3, 20
	s_mov_b32 s2, 0x19f4ec90
	s_mov_b32 s1, 0x3fa55555
	;; [unrolled: 1-line block ×3, first 2 shown]
	v_writelane_b32 v63, s86, 21
	s_branch .LBB0_37
.LBB0_34:                               ;   in Loop: Header=BB0_37 Depth=1
	v_readlane_b32 s6, v63, 28
	v_readlane_b32 s7, v63, 29
	s_or_b64 exec, exec, s[6:7]
.LBB0_35:                               ;   in Loop: Header=BB0_37 Depth=1
	v_readlane_b32 s6, v63, 26
	v_readlane_b32 s7, v63, 27
	s_or_b64 exec, exec, s[6:7]
	v_readlane_b32 s16, v63, 24
	v_readlane_b32 s17, v63, 25
.LBB0_36:                               ;   in Loop: Header=BB0_37 Depth=1
	v_readlane_b32 s6, v63, 22
	v_readlane_b32 s7, v63, 23
	s_or_b64 exec, exec, s[6:7]
	s_add_i32 s16, s16, 1
	s_cmp_eq_u32 s16, s87
	s_cbranch_scc1 .LBB0_116
.LBB0_37:                               ; =>This Loop Header: Depth=1
                                        ;     Child Loop BB0_50 Depth 2
                                        ;     Child Loop BB0_52 Depth 2
	;; [unrolled: 1-line block ×4, first 2 shown]
                                        ;       Child Loop BB0_69 Depth 3
                                        ;       Child Loop BB0_71 Depth 3
                                        ;     Child Loop BB0_75 Depth 2
                                        ;     Child Loop BB0_80 Depth 2
                                        ;       Child Loop BB0_87 Depth 3
                                        ;       Child Loop BB0_89 Depth 3
                                        ;     Child Loop BB0_94 Depth 2
                                        ;     Child Loop BB0_99 Depth 2
                                        ;       Child Loop BB0_106 Depth 3
                                        ;       Child Loop BB0_108 Depth 3
                                        ;     Child Loop BB0_114 Depth 2
	s_mov_b64 s[6:7], 0
	s_mov_b64 s[8:9], exec
	v_readlane_b32 s10, v63, 9
	v_readlane_b32 s11, v63, 10
	s_and_b64 s[10:11], s[8:9], s[10:11]
	s_xor_b64 s[8:9], s[10:11], s[8:9]
	s_mov_b64 exec, s[10:11]
	s_cbranch_execz .LBB0_39
; %bb.38:                               ;   in Loop: Header=BB0_37 Depth=1
	v_readlane_b32 s10, v63, 0
	v_readlane_b32 s11, v63, 1
	s_load_dwordx2 s[10:11], s[10:11], 0x0
	s_mul_i32 s6, s16, 0x70
	s_mul_hi_u32 s7, s16, 0x70
	s_waitcnt lgkmcnt(0)
	s_add_u32 s6, s10, s6
	s_addc_u32 s7, s11, s7
	global_load_dword v0, v29, s[6:7] offset:76
	v_readlane_b32 s6, v63, 17
	v_readlane_b32 s7, v63, 18
	s_waitcnt vmcnt(0)
	v_cmp_eq_u32_e32 vcc, 0, v0
	s_and_b64 s[6:7], vcc, s[6:7]
	s_and_b64 s[6:7], s[6:7], exec
.LBB0_39:                               ;   in Loop: Header=BB0_37 Depth=1
	s_or_saveexec_b64 s[8:9], s[8:9]
	s_waitcnt vmcnt(0)
	v_mov_b32_e32 v2, s16
	v_mov_b32_e32 v3, s17
	s_xor_b64 exec, exec, s[8:9]
	s_cbranch_execz .LBB0_43
; %bb.40:                               ;   in Loop: Header=BB0_37 Depth=1
	s_mov_b64 s[10:11], s[6:7]
	s_mov_b64 s[12:13], exec
	v_readlane_b32 s14, v63, 11
	v_readlane_b32 s15, v63, 12
	s_and_b64 s[14:15], s[12:13], s[14:15]
	s_mov_b64 exec, s[14:15]
; %bb.41:                               ;   in Loop: Header=BB0_37 Depth=1
	s_or_b64 s[10:11], s[6:7], exec
; %bb.42:                               ;   in Loop: Header=BB0_37 Depth=1
	s_or_b64 exec, exec, s[12:13]
	v_mov_b32_e32 v2, s16
	s_andn2_b64 s[6:7], s[6:7], exec
	s_and_b64 s[10:11], s[10:11], exec
	v_mov_b32_e32 v3, s17
	s_or_b64 s[6:7], s[6:7], s[10:11]
.LBB0_43:                               ;   in Loop: Header=BB0_37 Depth=1
	s_or_b64 exec, exec, s[8:9]
	s_mov_b64 s[8:9], exec
	v_writelane_b32 v63, s8, 22
	v_writelane_b32 v63, s9, 23
	s_and_b64 s[6:7], s[8:9], s[6:7]
	s_mov_b64 exec, s[6:7]
	s_cbranch_execz .LBB0_36
; %bb.44:                               ;   in Loop: Header=BB0_37 Depth=1
	v_readlane_b32 s6, v63, 0
	v_readlane_b32 s7, v63, 1
	s_load_dwordx2 s[6:7], s[6:7], 0x0
	s_movk_i32 s8, 0x70
	v_writelane_b32 v63, s16, 24
	v_writelane_b32 v63, s17, 25
	s_waitcnt lgkmcnt(0)
	v_mov_b32_e32 v13, s7
	v_mov_b32_e32 v12, s6
	v_mad_u64_u32 v[43:44], s[6:7], v2, s8, v[12:13]
	v_mov_b32_e32 v2, v44
	v_mad_u64_u32 v[2:3], s[6:7], v3, s8, v[2:3]
	v_cmp_ne_u32_e64 s[6:7], s16, v17
	v_mov_b32_e32 v44, v2
	global_load_dwordx2 v[2:3], v[43:44], off offset:40
	s_waitcnt vmcnt(0)
	v_cmp_neq_f64_e32 vcc, 0, v[2:3]
	s_and_b64 s[6:7], s[6:7], vcc
	s_mov_b64 s[8:9], exec
	v_writelane_b32 v63, s8, 26
	v_writelane_b32 v63, s9, 27
	s_and_b64 s[6:7], s[8:9], s[6:7]
	s_mov_b64 exec, s[6:7]
	s_cbranch_execz .LBB0_35
; %bb.45:                               ;   in Loop: Header=BB0_37 Depth=1
	global_load_dwordx2 v[12:13], v[43:44], off offset:16
	global_load_dwordx4 v[45:48], v[43:44], off
	buffer_load_dword v4, off, s[96:99], 0 offset:48 ; 4-byte Folded Reload
	buffer_load_dword v5, off, s[96:99], 0 offset:52 ; 4-byte Folded Reload
	;; [unrolled: 1-line block ×4, first 2 shown]
	s_mov_b32 s38, s87
	v_mov_b32_e32 v8, v31
	v_mov_b32_e32 v9, v32
	s_waitcnt vmcnt(2)
	v_add_f64 v[22:23], v[4:5], -v[45:46]
	s_waitcnt vmcnt(0)
	v_add_f64 v[51:52], v[6:7], -v[47:48]
	buffer_load_dword v4, off, s[96:99], 0 offset:32 ; 4-byte Folded Reload
	buffer_load_dword v5, off, s[96:99], 0 offset:36 ; 4-byte Folded Reload
	;; [unrolled: 1-line block ×4, first 2 shown]
	s_load_dwordx16 s[8:23], s[36:37], 0x0
	s_load_dwordx2 s[6:7], s[36:37], 0x40
	s_waitcnt lgkmcnt(0)
	v_fma_f64 v[35:36], s[20:21], v[22:23], 0
	v_fma_f64 v[20:21], s[14:15], v[22:23], 0
	;; [unrolled: 1-line block ×4, first 2 shown]
	s_waitcnt vmcnt(2)
	v_add_f64 v[53:54], v[4:5], -v[12:13]
	v_fma_f64 v[12:13], s[8:9], v[22:23], 0
	v_fma_f64 v[35:36], s[6:7], v[53:54], v[35:36]
	;; [unrolled: 1-line block ×3, first 2 shown]
	v_readlane_b32 s6, v63, 0
	v_readlane_b32 s7, v63, 1
	s_load_dwordx4 s[84:87], s[6:7], 0x10
	v_fma_f64 v[20:21], s[18:19], v[53:54], v[20:21]
	v_rndne_f64_e32 v[35:36], v[35:36]
	v_fma_f64 v[12:13], s[12:13], v[53:54], v[12:13]
	s_waitcnt lgkmcnt(0)
	s_load_dwordx16 s[8:23], s[86:87], 0x0
	s_load_dwordx2 s[6:7], s[86:87], 0x40
	v_rndne_f64_e32 v[20:21], v[20:21]
	v_rndne_f64_e32 v[12:13], v[12:13]
	s_waitcnt lgkmcnt(0)
	v_fma_f64 v[47:48], s[14:15], v[12:13], 0
	v_fma_f64 v[45:46], s[8:9], v[12:13], 0
	;; [unrolled: 1-line block ×9, first 2 shown]
	v_add_f64 v[49:50], v[51:52], -v[47:48]
	v_add_f64 v[45:46], v[22:23], -v[45:46]
	;; [unrolled: 1-line block ×3, first 2 shown]
	v_mul_f64 v[12:13], v[49:50], v[49:50]
	v_fma_f64 v[12:13], v[45:46], v[45:46], v[12:13]
	v_fma_f64 v[20:21], v[47:48], v[47:48], v[12:13]
	v_cmp_nle_f64_e32 vcc, 0, v[20:21]
	s_and_saveexec_b64 s[6:7], vcc
	s_cbranch_execz .LBB0_47
; %bb.46:                               ;   in Loop: Header=BB0_37 Depth=1
	v_mul_f64 v[12:13], v[51:52], v[51:52]
	v_mov_b32_e32 v47, v53
	v_mov_b32_e32 v49, v51
	v_mov_b32_e32 v46, v23
	v_mov_b32_e32 v48, v54
	v_mov_b32_e32 v50, v52
	v_mov_b32_e32 v45, v22
	v_fma_f64 v[12:13], v[22:23], v[22:23], v[12:13]
	v_fma_f64 v[20:21], v[53:54], v[53:54], v[12:13]
.LBB0_47:                               ;   in Loop: Header=BB0_37 Depth=1
	s_or_b64 exec, exec, s[6:7]
	s_mov_b32 s6, 0
	s_brev_b32 s7, 8
	v_cmp_gt_f64_e32 vcc, s[6:7], v[20:21]
	v_mov_b32_e32 v0, 0x100
	v_readlane_b32 s6, v63, 0
	v_readlane_b32 s7, v63, 1
	s_load_dwordx4 s[8:11], s[6:7], 0x10
	v_cndmask_b32_e32 v0, 0, v0, vcc
	v_ldexp_f64 v[12:13], v[20:21], v0
	v_mov_b32_e32 v0, 0xffffff80
	v_cndmask_b32_e32 v0, 0, v0, vcc
	v_rsq_f64_e32 v[22:23], v[12:13]
	v_mul_f64 v[35:36], v[12:13], v[22:23]
	v_mul_f64 v[22:23], v[22:23], 0.5
	v_fma_f64 v[51:52], -v[22:23], v[35:36], 0.5
	v_fma_f64 v[35:36], v[35:36], v[51:52], v[35:36]
	v_fma_f64 v[22:23], v[22:23], v[51:52], v[22:23]
	v_fma_f64 v[51:52], -v[35:36], v[35:36], v[12:13]
	v_fma_f64 v[35:36], v[51:52], v[22:23], v[35:36]
	v_fma_f64 v[51:52], -v[35:36], v[35:36], v[12:13]
	v_fma_f64 v[22:23], v[51:52], v[22:23], v[35:36]
	v_ldexp_f64 v[22:23], v[22:23], v0
	v_mov_b32_e32 v0, 0x260
	v_cmp_class_f64_e32 vcc, v[12:13], v0
	v_cndmask_b32_e32 v52, v23, v13, vcc
	v_cndmask_b32_e32 v51, v22, v12, vcc
	s_waitcnt lgkmcnt(0)
	v_cmp_ge_f64_e32 vcc, s[8:9], v[51:52]
	s_mov_b64 s[8:9], exec
	v_mov_b32_e32 v32, v9
	s_and_b64 s[6:7], s[8:9], vcc
	s_mov_b32 s87, s38
	v_readlane_b32 s86, v63, 21
	v_mov_b32_e32 v31, v8
	s_mov_b64 exec, s[6:7]
	s_cbranch_execz .LBB0_57
; %bb.48:                               ;   in Loop: Header=BB0_37 Depth=1
	global_load_dword v0, v[43:44], off offset:72
	buffer_load_dword v4, off, s[96:99], 0 offset:8 ; 4-byte Folded Reload
	buffer_load_dword v5, off, s[96:99], 0 offset:12 ; 4-byte Folded Reload
	s_waitcnt vmcnt(1)
	v_cmp_lt_i32_e32 vcc, v4, v0
	s_and_saveexec_b64 s[10:11], vcc
	s_cbranch_execz .LBB0_56
; %bb.49:                               ;   in Loop: Header=BB0_37 Depth=1
	v_div_scale_f64 v[12:13], s[6:7], v[51:52], v[51:52], v[45:46]
	buffer_load_dword v4, off, s[96:99], 0 offset:64 ; 4-byte Folded Reload
	buffer_load_dword v5, off, s[96:99], 0 offset:68 ; 4-byte Folded Reload
	;; [unrolled: 1-line block ×4, first 2 shown]
	s_mov_b32 s6, 0xfca7ab0c
	s_mov_b32 s7, 0x3e928af3
	v_rcp_f64_e32 v[22:23], v[12:13]
	v_fma_f64 v[35:36], -v[12:13], v[22:23], 1.0
	v_fma_f64 v[22:23], v[22:23], v[35:36], v[22:23]
	v_fma_f64 v[35:36], -v[12:13], v[22:23], 1.0
	v_fma_f64 v[22:23], v[22:23], v[35:36], v[22:23]
	v_div_scale_f64 v[35:36], vcc, v[45:46], v[51:52], v[45:46]
	v_mul_f64 v[53:54], v[35:36], v[22:23]
	v_fma_f64 v[12:13], -v[12:13], v[53:54], v[35:36]
	s_waitcnt vmcnt(0)
	v_mul_f64 v[55:56], v[2:3], v[6:7]
	v_div_fmas_f64 v[12:13], v[12:13], v[22:23], v[53:54]
	v_mul_f64 v[2:3], v[55:56], -2.0
	v_div_fixup_f64 v[10:11], v[12:13], v[51:52], v[45:46]
	v_mul_f64 v[12:13], s[28:29], v[2:3]
	v_mul_f64 v[2:3], s[28:29], -s[28:29]
	v_mul_f64 v[35:36], v[2:3], v[20:21]
	v_mul_f64 v[2:3], v[35:36], s[46:47]
	v_cmp_nlt_f64_e32 vcc, s[72:73], v[35:36]
	v_rndne_f64_e32 v[53:54], v[2:3]
	v_fma_f64 v[2:3], v[53:54], s[48:49], v[35:36]
	v_cvt_i32_f64_e32 v0, v[53:54]
	v_fma_f64 v[57:58], v[53:54], s[50:51], v[2:3]
	v_mov_b32_e32 v2, s6
	v_mov_b32_e32 v3, s7
	v_cmp_ngt_f64_e64 s[6:7], s[74:75], v[35:36]
	v_fma_f64 v[59:60], v[57:58], s[54:55], v[2:3]
	v_fma_f64 v[59:60], v[57:58], v[59:60], s[56:57]
	;; [unrolled: 1-line block ×9, first 2 shown]
	v_fma_f64 v[59:60], v[57:58], v[59:60], 1.0
	v_fma_f64 v[57:58], v[57:58], v[59:60], 1.0
	v_ldexp_f64 v[53:54], v[57:58], v0
	v_cndmask_b32_e32 v0, v14, v54, vcc
	s_and_b64 vcc, s[6:7], vcc
	v_cndmask_b32_e64 v36, 0, v0, s[6:7]
	s_mov_b32 s6, 0x91b4ef6a
	v_cndmask_b32_e32 v35, 0, v53, vcc
	s_mov_b32 s7, 0x3ffc5bf8
	v_mul_f64 v[12:13], v[35:36], v[12:13]
	v_mul_f64 v[35:36], v[51:52], s[6:7]
	v_div_scale_f64 v[53:54], s[6:7], v[35:36], v[35:36], v[12:13]
	v_rcp_f64_e32 v[57:58], v[53:54]
	v_fma_f64 v[59:60], -v[53:54], v[57:58], 1.0
	v_fma_f64 v[57:58], v[57:58], v[59:60], v[57:58]
	v_fma_f64 v[59:60], -v[53:54], v[57:58], 1.0
	v_fma_f64 v[57:58], v[57:58], v[59:60], v[57:58]
	v_div_scale_f64 v[59:60], vcc, v[12:13], v[35:36], v[12:13]
	v_mul_f64 v[61:62], v[59:60], v[57:58]
	v_fma_f64 v[53:54], -v[53:54], v[61:62], v[59:60]
	s_nop 1
	v_div_fmas_f64 v[53:54], v[53:54], v[57:58], v[61:62]
	v_mul_f64 v[57:58], s[28:29], v[51:52]
	v_div_fixup_f64 v[53:54], v[53:54], v[35:36], v[12:13]
	v_mul_f64 v[12:13], v[57:58], -v[57:58]
	v_mul_f64 v[59:60], v[12:13], s[46:47]
	v_cmp_nlt_f64_e32 vcc, s[72:73], v[12:13]
	v_cmp_ngt_f64_e64 s[6:7], s[74:75], v[12:13]
	v_fma_f64 v[35:36], -v[57:58], v[57:58], -v[12:13]
	v_rndne_f64_e32 v[59:60], v[59:60]
	v_fma_f64 v[61:62], v[59:60], s[48:49], v[12:13]
	v_cvt_i32_f64_e32 v0, v[59:60]
	v_add_f64 v[12:13], |v[57:58]|, 4.0
	v_fma_f64 v[61:62], v[59:60], s[50:51], v[61:62]
	v_fma_f64 v[2:3], v[61:62], s[54:55], v[2:3]
	;; [unrolled: 1-line block ×10, first 2 shown]
	v_fma_f64 v[2:3], v[61:62], v[2:3], 1.0
	v_fma_f64 v[2:3], v[61:62], v[2:3], 1.0
	v_ldexp_f64 v[2:3], v[2:3], v0
	v_cndmask_b32_e32 v0, v14, v3, vcc
	s_and_b64 vcc, s[6:7], vcc
	v_cndmask_b32_e32 v2, 0, v2, vcc
	v_cndmask_b32_e64 v3, 0, v0, s[6:7]
	v_fma_f64 v[59:60], v[2:3], v[35:36], v[2:3]
	v_rcp_f64_e32 v[35:36], v[12:13]
	buffer_load_dword v0, off, s[96:99], 0 offset:120 ; 4-byte Folded Reload
	buffer_load_dword v1, off, s[96:99], 0 offset:124 ; 4-byte Folded Reload
	v_add_f64 v[2:3], |v[57:58]|, -4.0
	s_mov_b32 s6, 0x54df3c0e
	s_mov_b32 s7, 0xbe41f39d
	v_fma_f64 v[61:62], -v[12:13], v[35:36], 1.0
	v_fma_f64 v[35:36], v[61:62], v[35:36], v[35:36]
	v_fma_f64 v[12:13], -v[12:13], v[35:36], 1.0
	v_fma_f64 v[12:13], v[12:13], v[35:36], v[35:36]
	v_mul_f64 v[2:3], v[2:3], v[12:13]
	v_add_f64 v[35:36], v[2:3], 1.0
	v_fma_f64 v[35:36], v[35:36], -4.0, |v[57:58]|
	v_fma_f64 v[35:36], -v[2:3], |v[57:58]|, v[35:36]
	v_fma_f64 v[2:3], v[12:13], v[35:36], v[2:3]
	s_waitcnt vmcnt(0)
	v_fma_f64 v[12:13], v[2:3], s[6:7], v[0:1]
	s_mov_b32 s6, 0xd9802b82
	s_mov_b32 s7, 0x3e7b45f1
	v_fma_f64 v[12:13], v[2:3], v[12:13], s[6:7]
	s_mov_b32 s6, 0x8a03dcdb
	s_mov_b32 s7, 0x3e6d9048
	;; [unrolled: 3-line block ×20, first 2 shown]
	v_fma_f64 v[2:3], v[2:3], v[12:13], s[6:7]
	v_add_f64 v[12:13], |v[57:58]|, |v[57:58]|
	s_mov_b32 s6, 0x41e48bfc
	s_mov_b32 s7, 0x403b39dc
	v_cmp_ngt_f64_e64 vcc, |v[57:58]|, s[6:7]
	v_add_f64 v[35:36], v[12:13], 1.0
	v_rcp_f64_e32 v[61:62], v[35:36]
	v_fma_f64 v[22:23], -v[35:36], v[61:62], 1.0
	v_fma_f64 v[22:23], v[22:23], v[61:62], v[61:62]
	v_fma_f64 v[35:36], -v[35:36], v[22:23], 1.0
	v_fma_f64 v[22:23], v[35:36], v[22:23], v[22:23]
	v_fma_f64 v[35:36], v[2:3], v[22:23], v[22:23]
	v_fma_f64 v[12:13], -v[35:36], v[12:13], 1.0
	v_add_f64 v[2:3], v[2:3], -v[35:36]
	v_add_f64 v[2:3], v[12:13], v[2:3]
	v_fma_f64 v[2:3], v[22:23], v[2:3], v[35:36]
	v_mul_f64 v[2:3], v[59:60], v[2:3]
	v_cndmask_b32_e32 v3, 0, v3, vcc
	v_cndmask_b32_e32 v2, 0, v2, vcc
	v_add_f64 v[12:13], -v[2:3], 2.0
	v_cmp_gt_f64_e32 vcc, 0, v[57:58]
	v_cndmask_b32_e32 v3, v3, v13, vcc
	v_cndmask_b32_e32 v2, v2, v12, vcc
	v_mul_f64 v[2:3], v[2:3], v[55:56]
	v_div_scale_f64 v[12:13], s[6:7], v[20:21], v[20:21], v[2:3]
	s_mov_b64 s[6:7], 0
	v_rcp_f64_e32 v[22:23], v[12:13]
	v_fma_f64 v[35:36], -v[12:13], v[22:23], 1.0
	v_fma_f64 v[22:23], v[22:23], v[35:36], v[22:23]
	v_fma_f64 v[35:36], -v[12:13], v[22:23], 1.0
	v_fma_f64 v[22:23], v[22:23], v[35:36], v[22:23]
	v_div_scale_f64 v[35:36], vcc, v[2:3], v[20:21], v[2:3]
	v_mul_f64 v[55:56], v[35:36], v[22:23]
	v_fma_f64 v[12:13], -v[12:13], v[55:56], v[35:36]
	s_nop 1
	v_div_fmas_f64 v[12:13], v[12:13], v[22:23], v[55:56]
	global_load_dwordx2 v[22:23], v[43:44], off offset:48
	v_div_fixup_f64 v[2:3], v[12:13], v[20:21], v[2:3]
	v_add_f64 v[2:3], v[53:54], -v[2:3]
	v_mul_f64 v[53:54], v[10:11], -v[2:3]
.LBB0_50:                               ;   Parent Loop BB0_37 Depth=1
                                        ; =>  This Inner Loop Header: Depth=2
	s_waitcnt vmcnt(0)
	v_add_f64 v[20:21], v[22:23], -v[53:54]
	global_atomic_cmpswap_x2 v[12:13], v[43:44], v[20:23], off offset:48 glc
	s_waitcnt vmcnt(0)
	v_cmp_eq_u64_e32 vcc, v[12:13], v[22:23]
	v_mov_b32_e32 v23, v13
	s_or_b64 s[6:7], vcc, s[6:7]
	v_mov_b32_e32 v22, v12
	s_andn2_b64 exec, exec, s[6:7]
	s_cbranch_execnz .LBB0_50
; %bb.51:                               ;   in Loop: Header=BB0_37 Depth=1
	s_or_b64 exec, exec, s[6:7]
	v_div_scale_f64 v[12:13], s[6:7], v[51:52], v[51:52], v[49:50]
	s_mov_b64 s[6:7], 0
	v_rcp_f64_e32 v[20:21], v[12:13]
	v_fma_f64 v[22:23], -v[12:13], v[20:21], 1.0
	v_fma_f64 v[20:21], v[20:21], v[22:23], v[20:21]
	v_fma_f64 v[22:23], -v[12:13], v[20:21], 1.0
	v_fma_f64 v[20:21], v[20:21], v[22:23], v[20:21]
	v_div_scale_f64 v[22:23], vcc, v[49:50], v[51:52], v[49:50]
	v_mul_f64 v[35:36], v[22:23], v[20:21]
	v_fma_f64 v[12:13], -v[12:13], v[35:36], v[22:23]
	global_load_dwordx2 v[22:23], v[43:44], off offset:56
	s_nop 0
	v_div_fmas_f64 v[12:13], v[12:13], v[20:21], v[35:36]
	v_div_fixup_f64 v[12:13], v[12:13], v[51:52], v[49:50]
	v_mul_f64 v[12:13], v[12:13], -v[2:3]
.LBB0_52:                               ;   Parent Loop BB0_37 Depth=1
                                        ; =>  This Inner Loop Header: Depth=2
	s_waitcnt vmcnt(0)
	v_add_f64 v[20:21], v[22:23], -v[12:13]
	global_atomic_cmpswap_x2 v[20:21], v[43:44], v[20:23], off offset:56 glc
	s_waitcnt vmcnt(0)
	v_cmp_eq_u64_e32 vcc, v[20:21], v[22:23]
	v_mov_b32_e32 v23, v21
	s_or_b64 s[6:7], vcc, s[6:7]
	v_mov_b32_e32 v22, v20
	s_andn2_b64 exec, exec, s[6:7]
	s_cbranch_execnz .LBB0_52
; %bb.53:                               ;   in Loop: Header=BB0_37 Depth=1
	s_or_b64 exec, exec, s[6:7]
	v_add_f64 v[33:34], v[33:34], v[12:13]
	v_div_scale_f64 v[12:13], s[6:7], v[51:52], v[51:52], v[47:48]
	buffer_load_dword v0, off, s[96:99], 0 offset:16 ; 4-byte Folded Reload
	buffer_load_dword v1, off, s[96:99], 0 offset:20 ; 4-byte Folded Reload
	v_mov_b32_e32 v32, v9
	v_mov_b32_e32 v31, v8
	v_add_f64 v[31:32], v[31:32], v[53:54]
	s_mov_b64 s[6:7], 0
	v_rcp_f64_e32 v[20:21], v[12:13]
	v_fma_f64 v[22:23], -v[12:13], v[20:21], 1.0
	v_fma_f64 v[20:21], v[20:21], v[22:23], v[20:21]
	v_fma_f64 v[22:23], -v[12:13], v[20:21], 1.0
	v_fma_f64 v[20:21], v[20:21], v[22:23], v[20:21]
	v_div_scale_f64 v[22:23], vcc, v[47:48], v[51:52], v[47:48]
	v_mul_f64 v[35:36], v[22:23], v[20:21]
	v_fma_f64 v[12:13], -v[12:13], v[35:36], v[22:23]
	s_nop 1
	v_div_fmas_f64 v[12:13], v[12:13], v[20:21], v[35:36]
	v_div_fixup_f64 v[20:21], v[12:13], v[51:52], v[47:48]
	s_waitcnt vmcnt(0)
	v_fma_f64 v[0:1], v[20:21], -v[2:3], v[0:1]
	v_mul_f64 v[12:13], v[20:21], -v[2:3]
	buffer_store_dword v0, off, s[96:99], 0 offset:16 ; 4-byte Folded Spill
	s_nop 0
	buffer_store_dword v1, off, s[96:99], 0 offset:20 ; 4-byte Folded Spill
	global_load_dwordx2 v[22:23], v[43:44], off offset:64
.LBB0_54:                               ;   Parent Loop BB0_37 Depth=1
                                        ; =>  This Inner Loop Header: Depth=2
	s_waitcnt vmcnt(0)
	v_add_f64 v[20:21], v[22:23], -v[12:13]
	global_atomic_cmpswap_x2 v[2:3], v[43:44], v[20:23], off offset:64 glc
	s_waitcnt vmcnt(0)
	v_cmp_eq_u64_e32 vcc, v[2:3], v[22:23]
	v_mov_b32_e32 v23, v3
	s_or_b64 s[6:7], vcc, s[6:7]
	v_mov_b32_e32 v22, v2
	s_andn2_b64 exec, exec, s[6:7]
	s_cbranch_execnz .LBB0_54
; %bb.55:                               ;   in Loop: Header=BB0_37 Depth=1
	s_or_b64 exec, exec, s[6:7]
.LBB0_56:                               ;   in Loop: Header=BB0_37 Depth=1
	s_or_b64 exec, exec, s[10:11]
.LBB0_57:                               ;   in Loop: Header=BB0_37 Depth=1
	s_or_b64 exec, exec, s[8:9]
	v_readlane_b32 s6, v63, 13
	v_readlane_b32 s7, v63, 14
	s_andn2_b64 vcc, exec, s[6:7]
	s_cbranch_vccnz .LBB0_35
; %bb.58:                               ;   in Loop: Header=BB0_37 Depth=1
	global_load_dword v0, v[43:44], off offset:72
	buffer_load_dword v1, off, s[96:99], 0 offset:8 ; 4-byte Folded Reload
	buffer_load_dword v2, off, s[96:99], 0 offset:12 ; 4-byte Folded Reload
	s_waitcnt vmcnt(1)
	v_cmp_lt_i32_e32 vcc, v1, v0
	s_mov_b64 s[6:7], exec
	v_writelane_b32 v63, s6, 28
	v_writelane_b32 v63, s7, 29
	s_and_b64 s[6:7], s[6:7], vcc
	s_mov_b64 exec, s[6:7]
	s_cbranch_execz .LBB0_34
; %bb.59:                               ;   in Loop: Header=BB0_37 Depth=1
	global_load_dwordx2 v[2:3], v[43:44], off offset:40
	buffer_load_dword v4, off, s[96:99], 0 offset:64 ; 4-byte Folded Reload
	buffer_load_dword v5, off, s[96:99], 0 offset:68 ; 4-byte Folded Reload
	;; [unrolled: 1-line block ×6, first 2 shown]
	v_readlane_b32 s6, v63, 19
	v_readlane_b32 s7, v63, 20
	s_mov_b32 s6, s88
	s_mov_b32 s9, s7
	v_writelane_b32 v63, s8, 19
	v_writelane_b32 v63, s9, 20
	s_waitcnt vmcnt(2)
	v_mul_f64 v[2:3], v[6:7], v[2:3]
	s_waitcnt vmcnt(0)
	v_mul_f64 v[2:3], v[0:1], v[2:3]
	v_mul_f64 v[51:52], v[2:3], s[6:7]
	v_readlane_b32 s6, v63, 15
	v_readlane_b32 s7, v63, 16
	v_cndmask_b32_e64 v0, 0, 1, s[6:7]
	v_cmp_ne_u32_e64 s[8:9], 1, v0
	v_writelane_b32 v63, s8, 30
	v_writelane_b32 v63, s9, 31
	s_andn2_b64 vcc, exec, s[6:7]
	s_cbranch_vccnz .LBB0_77
; %bb.60:                               ;   in Loop: Header=BB0_37 Depth=1
	s_mov_b32 s6, 0
	s_cmp_lg_u32 s6, 0
	s_cselect_b32 s7, s86, 0
	s_cmp_gt_i32 s7, s30
	s_cbranch_scc1 .LBB0_75
.LBB0_61:                               ;   in Loop: Header=BB0_37 Depth=1
	v_cvt_f64_i32_e32 v[53:54], s6
.LBB0_62:                               ;   Parent Loop BB0_37 Depth=1
                                        ; =>  This Loop Header: Depth=2
                                        ;       Child Loop BB0_69 Depth 3
                                        ;       Child Loop BB0_71 Depth 3
	s_or_b32 s8, s7, s6
	s_cmp_lg_u32 s8, 0
	s_cselect_b32 s38, s86, 1
	s_cmp_gt_i32 s38, s30
	s_cbranch_scc1 .LBB0_73
; %bb.63:                               ;   in Loop: Header=BB0_62 Depth=2
	v_cvt_f64_i32_e32 v[55:56], s7
	s_mul_i32 s84, s7, s7
	s_mul_i32 s8, s6, s6
	s_add_i32 s84, s84, s8
	s_mul_i32 s8, s38, s38
	s_add_i32 s8, s84, s8
	s_cmp_gt_u32 s8, s33
	s_cbranch_scc1 .LBB0_71
.LBB0_64:                               ;   in Loop: Header=BB0_62 Depth=2
	s_load_dwordx16 s[8:23], s[36:37], 0x0
	v_mov_b32_e32 v2, s88
	v_mov_b32_e32 v3, s89
	v_cvt_f64_i32_e32 v[35:36], s38
                                        ; implicit-def: $vgpr61_vgpr62
	s_waitcnt lgkmcnt(0)
	v_mul_f64 v[12:13], s[8:9], v[2:3]
	v_mul_f64 v[20:21], s[14:15], v[2:3]
	s_load_dwordx2 s[8:9], s[36:37], 0x40
	v_fma_f64 v[12:13], v[12:13], v[53:54], 0
	v_fma_f64 v[12:13], v[20:21], v[55:56], v[12:13]
	v_mul_f64 v[20:21], s[20:21], v[2:3]
	v_fma_f64 v[22:23], v[20:21], v[35:36], v[12:13]
	v_mul_f64 v[12:13], s[10:11], v[2:3]
	v_mul_f64 v[20:21], s[16:17], v[2:3]
	v_fma_f64 v[12:13], v[12:13], v[53:54], 0
	v_fma_f64 v[12:13], v[20:21], v[55:56], v[12:13]
	v_mul_f64 v[20:21], s[22:23], v[2:3]
	v_fma_f64 v[57:58], v[20:21], v[35:36], v[12:13]
	v_mul_f64 v[12:13], s[12:13], v[2:3]
	v_mul_f64 v[20:21], s[18:19], v[2:3]
	s_waitcnt lgkmcnt(0)
	v_mul_f64 v[2:3], s[8:9], v[2:3]
	v_fma_f64 v[12:13], v[12:13], v[53:54], 0
	v_fma_f64 v[12:13], v[20:21], v[55:56], v[12:13]
	;; [unrolled: 1-line block ×3, first 2 shown]
	v_mul_f64 v[2:3], v[57:58], v[49:50]
                                        ; implicit-def: $vgpr12
	v_fma_f64 v[2:3], v[22:23], v[45:46], v[2:3]
	v_fma_f64 v[20:21], v[59:60], v[47:48], v[2:3]
                                        ; implicit-def: $vgpr2_vgpr3
	v_cmp_nlt_f64_e64 s[8:9], |v[20:21]|, s[82:83]
	s_and_saveexec_b64 s[10:11], s[8:9]
	s_xor_b64 s[10:11], exec, s[10:11]
	s_cbranch_execz .LBB0_66
; %bb.65:                               ;   in Loop: Header=BB0_62 Depth=2
	v_trig_preop_f64 v[2:3], |v[20:21]|, 0
	s_mov_b32 s8, 0
	s_mov_b32 s9, 0x7b000000
	v_cmp_ge_f64_e64 vcc, |v[20:21]|, s[8:9]
	s_movk_i32 s8, 0xff80
	v_ldexp_f64 v[12:13], |v[20:21]|, s8
	v_trig_preop_f64 v[10:11], |v[20:21]|, 1
	v_and_b32_e32 v0, 0x7fffffff, v21
	s_mov_b32 s8, 0
	s_mov_b32 s9, 0x7ff00000
	;; [unrolled: 1-line block ×4, first 2 shown]
	v_cndmask_b32_e32 v62, v0, v13, vcc
	v_cndmask_b32_e32 v61, v20, v12, vcc
	v_mul_f64 v[4:5], v[2:3], v[61:62]
	v_mul_f64 v[35:36], v[10:11], v[61:62]
	v_fma_f64 v[6:7], v[2:3], v[61:62], -v[4:5]
	v_fma_f64 v[10:11], v[10:11], v[61:62], -v[35:36]
	v_add_f64 v[0:1], v[35:36], v[6:7]
	v_add_f64 v[24:25], v[0:1], -v[35:36]
	v_add_f64 v[16:17], v[4:5], v[0:1]
	v_add_f64 v[6:7], v[6:7], -v[24:25]
	v_add_f64 v[24:25], v[0:1], -v[24:25]
	;; [unrolled: 1-line block ×3, first 2 shown]
	v_ldexp_f64 v[2:3], v[16:17], -2
	v_mov_b32_e32 v17, v26
	v_add_u32_e32 v16, 1, v17
	v_add_f64 v[24:25], v[35:36], -v[24:25]
	v_add_f64 v[0:1], v[0:1], -v[4:5]
	v_fract_f64_e32 v[12:13], v[2:3]
	v_cmp_neq_f64_e64 vcc, |v[2:3]|, s[8:9]
	v_add_f64 v[6:7], v[6:7], v[24:25]
	v_trig_preop_f64 v[24:25], |v[20:21]|, 2
	v_mul_f64 v[14:15], v[24:25], v[61:62]
	v_add_f64 v[18:19], v[14:15], v[10:11]
	v_add_f64 v[8:9], v[18:19], v[6:7]
	v_add_f64 v[4:5], v[8:9], -v[18:19]
	v_add_f64 v[35:36], v[0:1], v[8:9]
	v_add_f64 v[6:7], v[6:7], -v[4:5]
	v_add_f64 v[4:5], v[8:9], -v[4:5]
	;; [unrolled: 1-line block ×5, first 2 shown]
	v_add_f64 v[4:5], v[6:7], v[4:5]
	v_add_f64 v[6:7], v[18:19], -v[14:15]
	v_add_f64 v[8:9], v[10:11], -v[6:7]
	;; [unrolled: 1-line block ×4, first 2 shown]
	v_add_f64 v[6:7], v[8:9], v[6:7]
	v_add_f64 v[4:5], v[6:7], v[4:5]
	v_fma_f64 v[6:7], v[24:25], v[61:62], -v[14:15]
	buffer_load_dword v24, off, s[96:99], 0 ; 4-byte Folded Reload
	buffer_load_dword v25, off, s[96:99], 0 offset:4 ; 4-byte Folded Reload
	v_mov_b32_e32 v15, 0x7ff80000
	v_mov_b32_e32 v14, 0x7ff00000
	v_add_f64 v[4:5], v[6:7], v[4:5]
	v_add_f64 v[61:62], v[0:1], v[4:5]
	v_ldexp_f64 v[0:1], v[12:13], 2
	v_cndmask_b32_e32 v1, 0, v1, vcc
	v_cndmask_b32_e32 v0, 0, v0, vcc
	v_add_f64 v[2:3], v[35:36], v[0:1]
	v_cmp_gt_f64_e32 vcc, 0, v[2:3]
	v_mov_b32_e32 v2, 0x40100000
	v_cndmask_b32_e32 v30, 0, v2, vcc
	v_add_f64 v[0:1], v[0:1], v[29:30]
	v_add_f64 v[2:3], v[35:36], v[0:1]
	v_cvt_i32_f64_e32 v4, v[2:3]
	v_cvt_f64_i32_e32 v[2:3], v4
	v_add_f64 v[0:1], v[0:1], -v[2:3]
	v_add_f64 v[2:3], v[35:36], v[0:1]
	v_add_f64 v[0:1], v[2:3], -v[0:1]
	v_cmp_le_f64_e32 vcc, 0.5, v[2:3]
	v_add_f64 v[0:1], v[35:36], -v[0:1]
	v_addc_co_u32_e64 v12, s[8:9], 0, v4, vcc
	v_mov_b32_e32 v4, 0x3ff00000
	v_cndmask_b32_e32 v30, 0, v4, vcc
	v_add_f64 v[2:3], v[2:3], -v[29:30]
	v_add_f64 v[0:1], v[61:62], v[0:1]
	v_add_f64 v[4:5], v[2:3], v[0:1]
	v_add_f64 v[2:3], v[4:5], -v[2:3]
	v_add_f64 v[0:1], v[0:1], -v[2:3]
	v_mul_f64 v[2:3], v[4:5], s[78:79]
	v_fma_f64 v[6:7], v[4:5], s[78:79], -v[2:3]
	v_fma_f64 v[4:5], v[4:5], s[92:93], v[6:7]
	v_fma_f64 v[0:1], v[0:1], s[78:79], v[4:5]
	v_add_f64 v[61:62], v[2:3], v[0:1]
	v_add_f64 v[2:3], v[61:62], -v[2:3]
	v_add_f64 v[2:3], v[0:1], -v[2:3]
.LBB0_66:                               ;   in Loop: Header=BB0_62 Depth=2
	s_andn2_saveexec_b64 s[8:9], s[10:11]
	s_cbranch_execz .LBB0_68
; %bb.67:                               ;   in Loop: Header=BB0_62 Depth=2
	v_mul_f64 v[2:3], |v[20:21]|, s[94:95]
	s_mov_b32 s80, s88
	s_mov_b32 s90, s76
	v_rndne_f64_e32 v[12:13], v[2:3]
	v_fma_f64 v[2:3], v[12:13], s[80:81], |v[20:21]|
	v_mul_f64 v[35:36], v[12:13], s[76:77]
	v_add_f64 v[61:62], v[2:3], v[35:36]
	v_add_f64 v[10:11], v[2:3], -v[61:62]
	v_fma_f64 v[2:3], v[12:13], s[76:77], v[2:3]
	v_add_f64 v[10:11], v[10:11], v[35:36]
	v_add_f64 v[61:62], v[61:62], -v[2:3]
	v_fma_f64 v[35:36], v[12:13], s[90:91], v[35:36]
	;; [unrolled: 3-line block ×3, first 2 shown]
	v_cvt_i32_f64_e32 v12, v[12:13]
	v_add_f64 v[61:62], v[2:3], v[10:11]
	v_add_f64 v[2:3], v[61:62], -v[2:3]
	v_add_f64 v[2:3], v[10:11], -v[2:3]
.LBB0_68:                               ;   in Loop: Header=BB0_62 Depth=2
	s_or_b64 exec, exec, s[8:9]
	v_mul_f64 v[0:1], v[57:58], v[57:58]
	v_mul_f64 v[35:36], v[61:62], v[61:62]
	s_mov_b32 s67, s1
	s_mov_b32 s65, s35
	v_fma_f64 v[0:1], v[22:23], v[22:23], v[0:1]
	v_fma_f64 v[57:58], v[59:60], v[59:60], v[0:1]
	v_mul_f64 v[0:1], v[51:52], v[22:23]
	v_div_scale_f64 v[4:5], s[8:9], v[27:28], v[27:28], -v[57:58]
	v_rcp_f64_e32 v[6:7], v[4:5]
	v_fma_f64 v[8:9], -v[4:5], v[6:7], 1.0
	v_fma_f64 v[6:7], v[6:7], v[8:9], v[6:7]
	v_fma_f64 v[8:9], -v[4:5], v[6:7], 1.0
	v_fma_f64 v[6:7], v[6:7], v[8:9], v[6:7]
	v_div_scale_f64 v[8:9], vcc, -v[57:58], v[27:28], -v[57:58]
	v_mul_f64 v[10:11], v[8:9], v[6:7]
	v_fma_f64 v[4:5], -v[4:5], v[10:11], v[8:9]
	s_nop 1
	v_div_fmas_f64 v[4:5], v[4:5], v[6:7], v[10:11]
	v_div_fixup_f64 v[4:5], v[4:5], v[27:28], -v[57:58]
	v_mul_f64 v[6:7], v[4:5], s[46:47]
	v_cmp_nlt_f64_e32 vcc, s[72:73], v[4:5]
	v_cmp_ngt_f64_e64 s[8:9], s[74:75], v[4:5]
	v_rndne_f64_e32 v[6:7], v[6:7]
	v_fma_f64 v[8:9], v[6:7], s[48:49], v[4:5]
	v_fma_f64 v[8:9], v[6:7], s[50:51], v[8:9]
	v_cvt_i32_f64_e32 v6, v[6:7]
	v_fma_f64 v[10:11], v[8:9], s[54:55], v[37:38]
	v_fma_f64 v[10:11], v[8:9], v[10:11], s[56:57]
	;; [unrolled: 1-line block ×9, first 2 shown]
	v_fma_f64 v[10:11], v[8:9], v[10:11], 1.0
	v_fma_f64 v[8:9], v[8:9], v[10:11], 1.0
	v_ldexp_f64 v[6:7], v[8:9], v6
	v_fma_f64 v[8:9], v[35:36], s[52:53], v[39:40]
	v_cndmask_b32_e32 v7, v14, v7, vcc
	s_and_b64 vcc, s[8:9], vcc
	v_cndmask_b32_e32 v4, 0, v6, vcc
	v_cndmask_b32_e64 v5, 0, v7, s[8:9]
	v_mul_f64 v[22:23], v[0:1], v[4:5]
	v_mul_f64 v[0:1], v[35:36], 0.5
	v_fma_f64 v[8:9], v[35:36], v[8:9], s[40:41]
	v_add_f64 v[4:5], -v[0:1], 1.0
	v_fma_f64 v[8:9], v[35:36], v[8:9], s[2:3]
	v_add_f64 v[6:7], -v[4:5], 1.0
	v_fma_f64 v[8:9], v[35:36], v[8:9], s[44:45]
	v_add_f64 v[0:1], v[6:7], -v[0:1]
	v_mul_f64 v[6:7], v[35:36], v[35:36]
	v_fma_f64 v[8:9], v[35:36], v[8:9], s[66:67]
	s_mov_b32 s67, s39
	v_fma_f64 v[0:1], v[61:62], -v[2:3], v[0:1]
	v_fma_f64 v[0:1], v[6:7], v[8:9], v[0:1]
	v_mul_f64 v[6:7], v[2:3], 0.5
	v_add_f64 v[59:60], v[4:5], v[0:1]
	v_fma_f64 v[0:1], v[35:36], s[4:5], v[41:42]
	v_mul_f64 v[4:5], v[61:62], -v[35:36]
	v_fma_f64 v[0:1], v[35:36], v[0:1], s[24:25]
	v_fma_f64 v[0:1], v[35:36], v[0:1], s[26:27]
	;; [unrolled: 1-line block ×4, first 2 shown]
	v_fma_f64 v[0:1], v[35:36], v[0:1], -v[2:3]
	v_and_b32_e32 v2, 1, v12
	v_cmp_eq_u32_e32 vcc, 0, v2
	v_lshlrev_b32_e32 v2, 30, v12
	v_xor_b32_e32 v2, v2, v21
	v_and_b32_e32 v2, 0x80000000, v2
	v_fma_f64 v[0:1], v[4:5], s[66:67], v[0:1]
	v_add_f64 v[0:1], v[61:62], -v[0:1]
	v_cndmask_b32_e32 v0, v59, v0, vcc
	v_cndmask_b32_e32 v1, v60, v1, vcc
	v_cmp_class_f64_e64 vcc, v[20:21], s31
	v_xor_b32_e32 v1, v1, v2
	v_cndmask_b32_e32 v0, 0, v0, vcc
	v_cndmask_b32_e32 v1, v15, v1, vcc
	v_mul_f64 v[0:1], v[22:23], v[0:1]
	global_load_dwordx2 v[22:23], v[43:44], off offset:48
	v_div_scale_f64 v[2:3], s[8:9], v[57:58], v[57:58], v[0:1]
	s_mov_b64 s[8:9], 0
	v_rcp_f64_e32 v[4:5], v[2:3]
	v_fma_f64 v[6:7], -v[2:3], v[4:5], 1.0
	v_fma_f64 v[4:5], v[4:5], v[6:7], v[4:5]
	v_fma_f64 v[6:7], -v[2:3], v[4:5], 1.0
	v_fma_f64 v[4:5], v[4:5], v[6:7], v[4:5]
	v_div_scale_f64 v[6:7], vcc, v[0:1], v[57:58], v[0:1]
	v_mul_f64 v[8:9], v[6:7], v[4:5]
	v_fma_f64 v[2:3], -v[2:3], v[8:9], v[6:7]
	s_nop 1
	v_div_fmas_f64 v[2:3], v[2:3], v[4:5], v[8:9]
	v_div_fixup_f64 v[0:1], v[2:3], v[57:58], v[0:1]
	v_add_f64 v[2:3], v[0:1], v[0:1]
	v_fma_f64 v[31:32], v[0:1], 2.0, v[31:32]
.LBB0_69:                               ;   Parent Loop BB0_37 Depth=1
                                        ;     Parent Loop BB0_62 Depth=2
                                        ; =>    This Inner Loop Header: Depth=3
	s_waitcnt vmcnt(0)
	v_add_f64 v[20:21], v[22:23], -v[2:3]
	global_atomic_cmpswap_x2 v[0:1], v[43:44], v[20:23], off offset:48 glc
	s_waitcnt vmcnt(0)
	v_cmp_eq_u64_e32 vcc, v[0:1], v[22:23]
	v_mov_b32_e32 v23, v1
	s_or_b64 s[8:9], vcc, s[8:9]
	v_mov_b32_e32 v22, v0
	s_andn2_b64 exec, exec, s[8:9]
	s_cbranch_execnz .LBB0_69
; %bb.70:                               ;   in Loop: Header=BB0_62 Depth=2
	s_or_b64 exec, exec, s[8:9]
.LBB0_71:                               ;   Parent Loop BB0_37 Depth=1
                                        ;     Parent Loop BB0_62 Depth=2
                                        ; =>    This Inner Loop Header: Depth=3
	s_add_i32 s8, s38, 1
	s_cmp_lt_i32 s38, s30
	s_cbranch_scc0 .LBB0_73
; %bb.72:                               ;   in Loop: Header=BB0_71 Depth=3
	s_mov_b32 s38, s8
	s_mul_i32 s8, s38, s38
	s_add_i32 s8, s84, s8
	s_cmp_gt_u32 s8, s33
	s_cbranch_scc0 .LBB0_64
	s_branch .LBB0_71
.LBB0_73:                               ;   in Loop: Header=BB0_62 Depth=2
	s_add_i32 s8, s7, 1
	s_cmp_lt_i32 s7, s30
	s_cbranch_scc0 .LBB0_75
; %bb.74:                               ;   in Loop: Header=BB0_62 Depth=2
	s_mov_b32 s7, s8
	s_branch .LBB0_62
.LBB0_75:                               ;   Parent Loop BB0_37 Depth=1
                                        ; =>  This Inner Loop Header: Depth=2
	s_add_i32 s7, s6, 1
	s_cmp_lg_u32 s6, s30
	s_cbranch_scc0 .LBB0_77
; %bb.76:                               ;   in Loop: Header=BB0_75 Depth=2
	s_mov_b32 s6, s7
	s_cmp_lg_u32 s6, 0
	s_cselect_b32 s7, s86, 0
	s_cmp_gt_i32 s7, s30
	s_cbranch_scc0 .LBB0_61
	s_branch .LBB0_75
.LBB0_77:                               ;   in Loop: Header=BB0_37 Depth=1
	v_readlane_b32 s6, v63, 30
	v_readlane_b32 s7, v63, 31
	s_and_b64 vcc, exec, s[6:7]
	buffer_store_dword v31, off, s[96:99], 0 offset:24 ; 4-byte Folded Spill
	s_nop 0
	buffer_store_dword v32, off, s[96:99], 0 offset:28 ; 4-byte Folded Spill
	s_cbranch_vccnz .LBB0_96
; %bb.78:                               ;   in Loop: Header=BB0_37 Depth=1
	s_mov_b32 s6, 0
	s_cmp_lg_u32 s6, 0
	s_cselect_b32 s7, s86, 0
	s_cmp_gt_i32 s7, s30
	s_cbranch_scc1 .LBB0_94
.LBB0_79:                               ;   in Loop: Header=BB0_37 Depth=1
	v_cvt_f64_i32_e32 v[53:54], s6
.LBB0_80:                               ;   Parent Loop BB0_37 Depth=1
                                        ; =>  This Loop Header: Depth=2
                                        ;       Child Loop BB0_87 Depth 3
                                        ;       Child Loop BB0_89 Depth 3
	s_or_b32 s8, s7, s6
	s_cmp_lg_u32 s8, 0
	s_cselect_b32 s38, s86, 1
	s_cmp_gt_i32 s38, s30
	s_cbranch_scc1 .LBB0_91
; %bb.81:                               ;   in Loop: Header=BB0_80 Depth=2
	v_cvt_f64_i32_e32 v[55:56], s7
	s_mul_i32 s84, s7, s7
	s_mul_i32 s8, s6, s6
	s_add_i32 s84, s84, s8
	s_mul_i32 s8, s38, s38
	s_add_i32 s8, s84, s8
	s_cmp_gt_u32 s8, s33
	s_cbranch_scc1 .LBB0_89
.LBB0_82:                               ;   in Loop: Header=BB0_80 Depth=2
	s_load_dwordx16 s[8:23], s[36:37], 0x0
	v_mov_b32_e32 v0, s88
	v_mov_b32_e32 v1, s89
	v_cvt_f64_i32_e32 v[6:7], s38
                                        ; implicit-def: $vgpr12
                                        ; implicit-def: $vgpr61_vgpr62
	s_waitcnt lgkmcnt(0)
	v_mul_f64 v[2:3], s[8:9], v[0:1]
	v_mul_f64 v[4:5], s[14:15], v[0:1]
	s_load_dwordx2 s[8:9], s[36:37], 0x40
	v_fma_f64 v[2:3], v[2:3], v[53:54], 0
	v_fma_f64 v[2:3], v[4:5], v[55:56], v[2:3]
	v_mul_f64 v[4:5], s[20:21], v[0:1]
	v_fma_f64 v[22:23], v[4:5], v[6:7], v[2:3]
	v_mul_f64 v[2:3], s[10:11], v[0:1]
	v_mul_f64 v[4:5], s[16:17], v[0:1]
	v_fma_f64 v[2:3], v[2:3], v[53:54], 0
	v_fma_f64 v[2:3], v[4:5], v[55:56], v[2:3]
	v_mul_f64 v[4:5], s[22:23], v[0:1]
	v_fma_f64 v[57:58], v[4:5], v[6:7], v[2:3]
	v_mul_f64 v[2:3], s[12:13], v[0:1]
	v_mul_f64 v[4:5], s[18:19], v[0:1]
	s_waitcnt lgkmcnt(0)
	v_mul_f64 v[0:1], s[8:9], v[0:1]
	v_fma_f64 v[2:3], v[2:3], v[53:54], 0
	v_fma_f64 v[2:3], v[4:5], v[55:56], v[2:3]
	;; [unrolled: 1-line block ×3, first 2 shown]
	v_mul_f64 v[0:1], v[57:58], v[49:50]
                                        ; implicit-def: $vgpr2_vgpr3
	v_fma_f64 v[0:1], v[22:23], v[45:46], v[0:1]
	v_fma_f64 v[20:21], v[59:60], v[47:48], v[0:1]
	v_cmp_nlt_f64_e64 s[8:9], |v[20:21]|, s[82:83]
	s_and_saveexec_b64 s[10:11], s[8:9]
	s_xor_b64 s[10:11], exec, s[10:11]
	s_cbranch_execz .LBB0_84
; %bb.83:                               ;   in Loop: Header=BB0_80 Depth=2
	v_trig_preop_f64 v[0:1], |v[20:21]|, 0
	s_mov_b32 s8, 0
	s_mov_b32 s9, 0x7b000000
	v_cmp_ge_f64_e64 vcc, |v[20:21]|, s[8:9]
	s_movk_i32 s8, 0xff80
	v_ldexp_f64 v[2:3], |v[20:21]|, s8
	v_trig_preop_f64 v[4:5], |v[20:21]|, 1
	v_and_b32_e32 v6, 0x7fffffff, v21
	s_mov_b32 s8, 0
	s_mov_b32 s9, 0x7ff00000
	;; [unrolled: 1-line block ×4, first 2 shown]
	v_cndmask_b32_e32 v7, v6, v3, vcc
	v_cndmask_b32_e32 v6, v20, v2, vcc
	v_mul_f64 v[10:11], v[0:1], v[6:7]
	v_mul_f64 v[8:9], v[4:5], v[6:7]
	v_fma_f64 v[0:1], v[0:1], v[6:7], -v[10:11]
	v_fma_f64 v[4:5], v[4:5], v[6:7], -v[8:9]
	v_add_f64 v[14:15], v[8:9], v[0:1]
	v_add_f64 v[18:19], v[14:15], -v[8:9]
	v_add_f64 v[16:17], v[10:11], v[14:15]
	v_add_f64 v[0:1], v[0:1], -v[18:19]
	v_add_f64 v[18:19], v[14:15], -v[18:19]
	;; [unrolled: 1-line block ×3, first 2 shown]
	v_ldexp_f64 v[2:3], v[16:17], -2
	v_mov_b32_e32 v17, v26
	v_add_u32_e32 v16, 1, v17
	v_add_f64 v[18:19], v[8:9], -v[18:19]
	v_trig_preop_f64 v[8:9], |v[20:21]|, 2
	v_add_f64 v[10:11], v[14:15], -v[10:11]
	v_fract_f64_e32 v[12:13], v[2:3]
	v_cmp_neq_f64_e64 vcc, |v[2:3]|, s[8:9]
	v_add_f64 v[0:1], v[0:1], v[18:19]
	v_mul_f64 v[18:19], v[8:9], v[6:7]
	v_add_f64 v[24:25], v[18:19], v[4:5]
	v_add_f64 v[61:62], v[24:25], v[0:1]
	v_add_f64 v[14:15], v[61:62], -v[24:25]
	v_add_f64 v[35:36], v[10:11], v[61:62]
	v_add_f64 v[0:1], v[0:1], -v[14:15]
	v_add_f64 v[14:15], v[61:62], -v[14:15]
	;; [unrolled: 1-line block ×5, first 2 shown]
	v_add_f64 v[0:1], v[0:1], v[14:15]
	v_add_f64 v[14:15], v[24:25], -v[18:19]
	v_add_f64 v[4:5], v[4:5], -v[14:15]
	;; [unrolled: 1-line block ×3, first 2 shown]
	buffer_load_dword v24, off, s[96:99], 0 ; 4-byte Folded Reload
	buffer_load_dword v25, off, s[96:99], 0 offset:4 ; 4-byte Folded Reload
	v_add_f64 v[14:15], v[18:19], -v[14:15]
	v_add_f64 v[4:5], v[4:5], v[14:15]
	v_mov_b32_e32 v15, 0x7ff80000
	v_mov_b32_e32 v14, 0x7ff00000
	v_add_f64 v[0:1], v[4:5], v[0:1]
	v_fma_f64 v[4:5], v[8:9], v[6:7], -v[18:19]
	v_add_f64 v[0:1], v[4:5], v[0:1]
	v_add_f64 v[61:62], v[10:11], v[0:1]
	v_ldexp_f64 v[0:1], v[12:13], 2
	v_cndmask_b32_e32 v1, 0, v1, vcc
	v_cndmask_b32_e32 v0, 0, v0, vcc
	v_add_f64 v[2:3], v[35:36], v[0:1]
	v_cmp_gt_f64_e32 vcc, 0, v[2:3]
	v_mov_b32_e32 v2, 0x40100000
	v_cndmask_b32_e32 v30, 0, v2, vcc
	v_add_f64 v[0:1], v[0:1], v[29:30]
	v_add_f64 v[2:3], v[35:36], v[0:1]
	v_cvt_i32_f64_e32 v4, v[2:3]
	v_cvt_f64_i32_e32 v[2:3], v4
	v_add_f64 v[0:1], v[0:1], -v[2:3]
	v_add_f64 v[2:3], v[35:36], v[0:1]
	v_add_f64 v[0:1], v[2:3], -v[0:1]
	v_cmp_le_f64_e32 vcc, 0.5, v[2:3]
	v_add_f64 v[0:1], v[35:36], -v[0:1]
	v_addc_co_u32_e64 v12, s[8:9], 0, v4, vcc
	v_mov_b32_e32 v4, 0x3ff00000
	v_cndmask_b32_e32 v30, 0, v4, vcc
	v_add_f64 v[2:3], v[2:3], -v[29:30]
	v_add_f64 v[0:1], v[61:62], v[0:1]
	v_add_f64 v[4:5], v[2:3], v[0:1]
	v_add_f64 v[2:3], v[4:5], -v[2:3]
	v_add_f64 v[0:1], v[0:1], -v[2:3]
	v_mul_f64 v[2:3], v[4:5], s[78:79]
	v_fma_f64 v[6:7], v[4:5], s[78:79], -v[2:3]
	v_fma_f64 v[4:5], v[4:5], s[92:93], v[6:7]
	v_fma_f64 v[0:1], v[0:1], s[78:79], v[4:5]
	v_add_f64 v[61:62], v[2:3], v[0:1]
	v_add_f64 v[2:3], v[61:62], -v[2:3]
	v_add_f64 v[2:3], v[0:1], -v[2:3]
.LBB0_84:                               ;   in Loop: Header=BB0_80 Depth=2
	s_andn2_saveexec_b64 s[8:9], s[10:11]
	s_cbranch_execz .LBB0_86
; %bb.85:                               ;   in Loop: Header=BB0_80 Depth=2
	v_mul_f64 v[0:1], |v[20:21]|, s[94:95]
	s_mov_b32 s80, s88
	s_mov_b32 s90, s76
	v_rndne_f64_e32 v[0:1], v[0:1]
	v_fma_f64 v[2:3], v[0:1], s[80:81], |v[20:21]|
	v_mul_f64 v[4:5], v[0:1], s[76:77]
	v_cvt_i32_f64_e32 v12, v[0:1]
	v_add_f64 v[6:7], v[2:3], v[4:5]
	v_add_f64 v[8:9], v[2:3], -v[6:7]
	v_fma_f64 v[2:3], v[0:1], s[76:77], v[2:3]
	v_add_f64 v[8:9], v[8:9], v[4:5]
	v_add_f64 v[6:7], v[6:7], -v[2:3]
	v_fma_f64 v[4:5], v[0:1], s[90:91], v[4:5]
	;; [unrolled: 3-line block ×3, first 2 shown]
	v_add_f64 v[61:62], v[2:3], v[4:5]
	v_add_f64 v[2:3], v[61:62], -v[2:3]
	v_add_f64 v[2:3], v[4:5], -v[2:3]
.LBB0_86:                               ;   in Loop: Header=BB0_80 Depth=2
	s_or_b64 exec, exec, s[8:9]
	v_mul_f64 v[0:1], v[57:58], v[57:58]
	v_mul_f64 v[35:36], v[61:62], v[61:62]
	s_mov_b32 s67, s1
	s_mov_b32 s65, s35
	v_fma_f64 v[0:1], v[22:23], v[22:23], v[0:1]
	v_fma_f64 v[22:23], v[59:60], v[59:60], v[0:1]
	v_mul_f64 v[0:1], v[51:52], v[57:58]
	v_div_scale_f64 v[4:5], s[8:9], v[27:28], v[27:28], -v[22:23]
	v_rcp_f64_e32 v[6:7], v[4:5]
	v_fma_f64 v[8:9], -v[4:5], v[6:7], 1.0
	v_fma_f64 v[6:7], v[6:7], v[8:9], v[6:7]
	v_fma_f64 v[8:9], -v[4:5], v[6:7], 1.0
	v_fma_f64 v[6:7], v[6:7], v[8:9], v[6:7]
	v_div_scale_f64 v[8:9], vcc, -v[22:23], v[27:28], -v[22:23]
	v_mul_f64 v[10:11], v[8:9], v[6:7]
	v_fma_f64 v[4:5], -v[4:5], v[10:11], v[8:9]
	s_nop 1
	v_div_fmas_f64 v[4:5], v[4:5], v[6:7], v[10:11]
	v_div_fixup_f64 v[4:5], v[4:5], v[27:28], -v[22:23]
	v_mul_f64 v[6:7], v[4:5], s[46:47]
	v_cmp_nlt_f64_e32 vcc, s[72:73], v[4:5]
	v_cmp_ngt_f64_e64 s[8:9], s[74:75], v[4:5]
	v_rndne_f64_e32 v[6:7], v[6:7]
	v_fma_f64 v[8:9], v[6:7], s[48:49], v[4:5]
	v_fma_f64 v[8:9], v[6:7], s[50:51], v[8:9]
	v_cvt_i32_f64_e32 v6, v[6:7]
	v_fma_f64 v[10:11], v[8:9], s[54:55], v[37:38]
	v_fma_f64 v[10:11], v[8:9], v[10:11], s[56:57]
	;; [unrolled: 1-line block ×9, first 2 shown]
	v_fma_f64 v[10:11], v[8:9], v[10:11], 1.0
	v_fma_f64 v[8:9], v[8:9], v[10:11], 1.0
	v_ldexp_f64 v[6:7], v[8:9], v6
	v_fma_f64 v[8:9], v[35:36], s[52:53], v[39:40]
	v_cndmask_b32_e32 v7, v14, v7, vcc
	s_and_b64 vcc, s[8:9], vcc
	v_cndmask_b32_e32 v4, 0, v6, vcc
	v_cndmask_b32_e64 v5, 0, v7, s[8:9]
	v_mul_f64 v[57:58], v[0:1], v[4:5]
	v_mul_f64 v[0:1], v[35:36], 0.5
	v_fma_f64 v[8:9], v[35:36], v[8:9], s[40:41]
	v_add_f64 v[4:5], -v[0:1], 1.0
	v_fma_f64 v[8:9], v[35:36], v[8:9], s[2:3]
	v_add_f64 v[6:7], -v[4:5], 1.0
	v_fma_f64 v[8:9], v[35:36], v[8:9], s[44:45]
	v_add_f64 v[0:1], v[6:7], -v[0:1]
	v_mul_f64 v[6:7], v[35:36], v[35:36]
	v_fma_f64 v[8:9], v[35:36], v[8:9], s[66:67]
	s_mov_b32 s67, s39
	v_fma_f64 v[0:1], v[61:62], -v[2:3], v[0:1]
	v_fma_f64 v[0:1], v[6:7], v[8:9], v[0:1]
	v_mul_f64 v[6:7], v[2:3], 0.5
	v_add_f64 v[59:60], v[4:5], v[0:1]
	v_fma_f64 v[0:1], v[35:36], s[4:5], v[41:42]
	v_mul_f64 v[4:5], v[61:62], -v[35:36]
	v_fma_f64 v[0:1], v[35:36], v[0:1], s[24:25]
	v_fma_f64 v[0:1], v[35:36], v[0:1], s[26:27]
	;; [unrolled: 1-line block ×4, first 2 shown]
	v_fma_f64 v[0:1], v[35:36], v[0:1], -v[2:3]
	v_and_b32_e32 v2, 1, v12
	v_cmp_eq_u32_e32 vcc, 0, v2
	v_lshlrev_b32_e32 v2, 30, v12
	v_xor_b32_e32 v2, v2, v21
	v_and_b32_e32 v2, 0x80000000, v2
	v_fma_f64 v[0:1], v[4:5], s[66:67], v[0:1]
	v_add_f64 v[0:1], v[61:62], -v[0:1]
	v_cndmask_b32_e32 v0, v59, v0, vcc
	v_cndmask_b32_e32 v1, v60, v1, vcc
	v_cmp_class_f64_e64 vcc, v[20:21], s31
	v_xor_b32_e32 v1, v1, v2
	v_cndmask_b32_e32 v0, 0, v0, vcc
	v_cndmask_b32_e32 v1, v15, v1, vcc
	v_mul_f64 v[0:1], v[57:58], v[0:1]
	v_div_scale_f64 v[2:3], s[8:9], v[22:23], v[22:23], v[0:1]
	s_mov_b64 s[8:9], 0
	v_rcp_f64_e32 v[4:5], v[2:3]
	v_fma_f64 v[6:7], -v[2:3], v[4:5], 1.0
	v_fma_f64 v[4:5], v[4:5], v[6:7], v[4:5]
	v_fma_f64 v[6:7], -v[2:3], v[4:5], 1.0
	v_fma_f64 v[4:5], v[4:5], v[6:7], v[4:5]
	v_div_scale_f64 v[6:7], vcc, v[0:1], v[22:23], v[0:1]
	v_mul_f64 v[8:9], v[6:7], v[4:5]
	v_fma_f64 v[2:3], -v[2:3], v[8:9], v[6:7]
	s_nop 1
	v_div_fmas_f64 v[2:3], v[2:3], v[4:5], v[8:9]
	v_div_fixup_f64 v[0:1], v[2:3], v[22:23], v[0:1]
	global_load_dwordx2 v[22:23], v[43:44], off offset:56
	v_add_f64 v[2:3], v[0:1], v[0:1]
	v_fma_f64 v[33:34], v[0:1], 2.0, v[33:34]
.LBB0_87:                               ;   Parent Loop BB0_37 Depth=1
                                        ;     Parent Loop BB0_80 Depth=2
                                        ; =>    This Inner Loop Header: Depth=3
	s_waitcnt vmcnt(0)
	v_add_f64 v[20:21], v[22:23], -v[2:3]
	global_atomic_cmpswap_x2 v[0:1], v[43:44], v[20:23], off offset:56 glc
	s_waitcnt vmcnt(0)
	v_cmp_eq_u64_e32 vcc, v[0:1], v[22:23]
	v_mov_b32_e32 v23, v1
	s_or_b64 s[8:9], vcc, s[8:9]
	v_mov_b32_e32 v22, v0
	s_andn2_b64 exec, exec, s[8:9]
	s_cbranch_execnz .LBB0_87
; %bb.88:                               ;   in Loop: Header=BB0_80 Depth=2
	s_or_b64 exec, exec, s[8:9]
.LBB0_89:                               ;   Parent Loop BB0_37 Depth=1
                                        ;     Parent Loop BB0_80 Depth=2
                                        ; =>    This Inner Loop Header: Depth=3
	s_add_i32 s8, s38, 1
	s_cmp_lt_i32 s38, s30
	s_cbranch_scc0 .LBB0_91
; %bb.90:                               ;   in Loop: Header=BB0_89 Depth=3
	s_mov_b32 s38, s8
	s_mul_i32 s8, s38, s38
	s_add_i32 s8, s84, s8
	s_cmp_gt_u32 s8, s33
	s_cbranch_scc0 .LBB0_82
	s_branch .LBB0_89
.LBB0_91:                               ;   in Loop: Header=BB0_80 Depth=2
	s_add_i32 s8, s7, 1
	s_cmp_lt_i32 s7, s30
	s_cbranch_scc0 .LBB0_93
; %bb.92:                               ;   in Loop: Header=BB0_80 Depth=2
	s_mov_b32 s7, s8
	s_branch .LBB0_80
.LBB0_93:                               ;   in Loop: Header=BB0_37 Depth=1
	buffer_load_dword v31, off, s[96:99], 0 offset:24 ; 4-byte Folded Reload
	buffer_load_dword v32, off, s[96:99], 0 offset:28 ; 4-byte Folded Reload
.LBB0_94:                               ;   Parent Loop BB0_37 Depth=1
                                        ; =>  This Inner Loop Header: Depth=2
	s_add_i32 s7, s6, 1
	s_cmp_lg_u32 s6, s30
	s_cbranch_scc0 .LBB0_96
; %bb.95:                               ;   in Loop: Header=BB0_94 Depth=2
	s_mov_b32 s6, s7
	s_cmp_lg_u32 s6, 0
	s_cselect_b32 s7, s86, 0
	s_cmp_gt_i32 s7, s30
	s_cbranch_scc0 .LBB0_79
	s_branch .LBB0_94
.LBB0_96:                               ;   in Loop: Header=BB0_37 Depth=1
	v_readlane_b32 s6, v63, 30
	v_readlane_b32 s7, v63, 31
	s_and_b64 vcc, exec, s[6:7]
	s_cbranch_vccnz .LBB0_34
; %bb.97:                               ;   in Loop: Header=BB0_37 Depth=1
	s_mov_b32 s38, 0
	s_cmp_lg_u32 s38, 0
	s_cselect_b32 s84, s86, 0
	s_cmp_gt_i32 s84, s30
	s_cbranch_scc1 .LBB0_114
.LBB0_98:                               ;   in Loop: Header=BB0_37 Depth=1
	buffer_load_dword v31, off, s[96:99], 0 offset:16 ; 4-byte Folded Reload
	buffer_load_dword v32, off, s[96:99], 0 offset:20 ; 4-byte Folded Reload
	v_cvt_f64_i32_e32 v[53:54], s38
.LBB0_99:                               ;   Parent Loop BB0_37 Depth=1
                                        ; =>  This Loop Header: Depth=2
                                        ;       Child Loop BB0_106 Depth 3
                                        ;       Child Loop BB0_108 Depth 3
	s_or_b32 s6, s84, s38
	s_cmp_lg_u32 s6, 0
	s_cselect_b32 s85, s86, 1
	s_cmp_gt_i32 s85, s30
	s_cbranch_scc1 .LBB0_111
; %bb.100:                              ;   in Loop: Header=BB0_99 Depth=2
	v_cvt_f64_i32_e32 v[55:56], s84
	s_mul_i32 s86, s84, s84
	s_mul_i32 s6, s38, s38
	s_add_i32 s86, s86, s6
	s_mul_i32 s6, s85, s85
	s_add_i32 s6, s86, s6
	s_cmp_gt_u32 s6, s33
	s_cbranch_scc1 .LBB0_108
.LBB0_101:                              ;   in Loop: Header=BB0_99 Depth=2
	s_load_dwordx16 s[8:23], s[36:37], 0x0
	v_mov_b32_e32 v0, s88
	v_mov_b32_e32 v1, s89
	v_cvt_f64_i32_e32 v[6:7], s85
	s_load_dwordx2 s[6:7], s[36:37], 0x40
	s_waitcnt lgkmcnt(0)
	v_mul_f64 v[2:3], s[8:9], v[0:1]
	v_mul_f64 v[4:5], s[14:15], v[0:1]
                                        ; implicit-def: $vgpr12
                                        ; implicit-def: $vgpr61_vgpr62
	v_fma_f64 v[2:3], v[2:3], v[53:54], 0
	v_fma_f64 v[2:3], v[4:5], v[55:56], v[2:3]
	v_mul_f64 v[4:5], s[20:21], v[0:1]
	v_fma_f64 v[22:23], v[4:5], v[6:7], v[2:3]
	v_mul_f64 v[2:3], s[10:11], v[0:1]
	v_mul_f64 v[4:5], s[16:17], v[0:1]
	v_fma_f64 v[2:3], v[2:3], v[53:54], 0
	v_fma_f64 v[2:3], v[4:5], v[55:56], v[2:3]
	v_mul_f64 v[4:5], s[22:23], v[0:1]
	v_fma_f64 v[57:58], v[4:5], v[6:7], v[2:3]
	v_mul_f64 v[2:3], s[12:13], v[0:1]
	v_mul_f64 v[4:5], s[18:19], v[0:1]
	;; [unrolled: 1-line block ×3, first 2 shown]
	v_fma_f64 v[2:3], v[2:3], v[53:54], 0
	v_fma_f64 v[2:3], v[4:5], v[55:56], v[2:3]
	;; [unrolled: 1-line block ×3, first 2 shown]
	v_mul_f64 v[0:1], v[57:58], v[49:50]
                                        ; implicit-def: $vgpr2_vgpr3
	v_fma_f64 v[0:1], v[22:23], v[45:46], v[0:1]
	v_fma_f64 v[20:21], v[59:60], v[47:48], v[0:1]
	v_cmp_nlt_f64_e64 s[6:7], |v[20:21]|, s[82:83]
	s_and_saveexec_b64 s[8:9], s[6:7]
	s_xor_b64 s[8:9], exec, s[8:9]
	s_cbranch_execz .LBB0_103
; %bb.102:                              ;   in Loop: Header=BB0_99 Depth=2
	v_trig_preop_f64 v[0:1], |v[20:21]|, 0
	s_mov_b32 s6, 0
	s_mov_b32 s7, 0x7b000000
	v_cmp_ge_f64_e64 vcc, |v[20:21]|, s[6:7]
	s_movk_i32 s6, 0xff80
	v_ldexp_f64 v[2:3], |v[20:21]|, s6
	v_trig_preop_f64 v[4:5], |v[20:21]|, 1
	v_and_b32_e32 v6, 0x7fffffff, v21
	s_mov_b32 s6, 0
	s_mov_b32 s7, 0x7ff00000
	;; [unrolled: 1-line block ×4, first 2 shown]
	v_cndmask_b32_e32 v7, v6, v3, vcc
	v_cndmask_b32_e32 v6, v20, v2, vcc
	v_mul_f64 v[10:11], v[0:1], v[6:7]
	v_mul_f64 v[8:9], v[4:5], v[6:7]
	v_fma_f64 v[0:1], v[0:1], v[6:7], -v[10:11]
	v_fma_f64 v[4:5], v[4:5], v[6:7], -v[8:9]
	v_add_f64 v[14:15], v[8:9], v[0:1]
	v_add_f64 v[18:19], v[14:15], -v[8:9]
	v_add_f64 v[16:17], v[10:11], v[14:15]
	v_add_f64 v[0:1], v[0:1], -v[18:19]
	v_add_f64 v[18:19], v[14:15], -v[18:19]
	;; [unrolled: 1-line block ×3, first 2 shown]
	v_ldexp_f64 v[2:3], v[16:17], -2
	v_mov_b32_e32 v17, v26
	v_add_u32_e32 v16, 1, v17
	v_add_f64 v[18:19], v[8:9], -v[18:19]
	v_trig_preop_f64 v[8:9], |v[20:21]|, 2
	v_add_f64 v[10:11], v[14:15], -v[10:11]
	v_fract_f64_e32 v[12:13], v[2:3]
	v_cmp_neq_f64_e64 vcc, |v[2:3]|, s[6:7]
	v_add_f64 v[0:1], v[0:1], v[18:19]
	v_mul_f64 v[18:19], v[8:9], v[6:7]
	v_add_f64 v[24:25], v[18:19], v[4:5]
	v_add_f64 v[61:62], v[24:25], v[0:1]
	v_add_f64 v[14:15], v[61:62], -v[24:25]
	v_add_f64 v[35:36], v[10:11], v[61:62]
	v_add_f64 v[0:1], v[0:1], -v[14:15]
	v_add_f64 v[14:15], v[61:62], -v[14:15]
	;; [unrolled: 1-line block ×5, first 2 shown]
	v_add_f64 v[0:1], v[0:1], v[14:15]
	v_add_f64 v[14:15], v[24:25], -v[18:19]
	v_add_f64 v[4:5], v[4:5], -v[14:15]
	;; [unrolled: 1-line block ×3, first 2 shown]
	buffer_load_dword v24, off, s[96:99], 0 ; 4-byte Folded Reload
	buffer_load_dword v25, off, s[96:99], 0 offset:4 ; 4-byte Folded Reload
	v_add_f64 v[14:15], v[18:19], -v[14:15]
	v_add_f64 v[4:5], v[4:5], v[14:15]
	v_mov_b32_e32 v15, 0x7ff80000
	v_mov_b32_e32 v14, 0x7ff00000
	v_add_f64 v[0:1], v[4:5], v[0:1]
	v_fma_f64 v[4:5], v[8:9], v[6:7], -v[18:19]
	v_add_f64 v[0:1], v[4:5], v[0:1]
	v_add_f64 v[61:62], v[10:11], v[0:1]
	v_ldexp_f64 v[0:1], v[12:13], 2
	v_cndmask_b32_e32 v1, 0, v1, vcc
	v_cndmask_b32_e32 v0, 0, v0, vcc
	v_add_f64 v[2:3], v[35:36], v[0:1]
	v_cmp_gt_f64_e32 vcc, 0, v[2:3]
	v_mov_b32_e32 v2, 0x40100000
	v_cndmask_b32_e32 v30, 0, v2, vcc
	v_add_f64 v[0:1], v[0:1], v[29:30]
	v_add_f64 v[2:3], v[35:36], v[0:1]
	v_cvt_i32_f64_e32 v4, v[2:3]
	v_cvt_f64_i32_e32 v[2:3], v4
	v_add_f64 v[0:1], v[0:1], -v[2:3]
	v_add_f64 v[2:3], v[35:36], v[0:1]
	v_add_f64 v[0:1], v[2:3], -v[0:1]
	v_cmp_le_f64_e32 vcc, 0.5, v[2:3]
	v_add_f64 v[0:1], v[35:36], -v[0:1]
	v_addc_co_u32_e64 v12, s[6:7], 0, v4, vcc
	v_mov_b32_e32 v4, 0x3ff00000
	v_cndmask_b32_e32 v30, 0, v4, vcc
	v_add_f64 v[2:3], v[2:3], -v[29:30]
	v_add_f64 v[0:1], v[61:62], v[0:1]
	v_add_f64 v[4:5], v[2:3], v[0:1]
	v_add_f64 v[2:3], v[4:5], -v[2:3]
	v_add_f64 v[0:1], v[0:1], -v[2:3]
	v_mul_f64 v[2:3], v[4:5], s[78:79]
	v_fma_f64 v[6:7], v[4:5], s[78:79], -v[2:3]
	v_fma_f64 v[4:5], v[4:5], s[92:93], v[6:7]
	v_fma_f64 v[0:1], v[0:1], s[78:79], v[4:5]
	v_add_f64 v[61:62], v[2:3], v[0:1]
	v_add_f64 v[2:3], v[61:62], -v[2:3]
	v_add_f64 v[2:3], v[0:1], -v[2:3]
.LBB0_103:                              ;   in Loop: Header=BB0_99 Depth=2
	s_andn2_saveexec_b64 s[6:7], s[8:9]
	s_cbranch_execz .LBB0_105
; %bb.104:                              ;   in Loop: Header=BB0_99 Depth=2
	v_mul_f64 v[0:1], |v[20:21]|, s[94:95]
	s_mov_b32 s80, s88
	s_mov_b32 s90, s76
	v_rndne_f64_e32 v[0:1], v[0:1]
	v_fma_f64 v[2:3], v[0:1], s[80:81], |v[20:21]|
	v_mul_f64 v[4:5], v[0:1], s[76:77]
	v_cvt_i32_f64_e32 v12, v[0:1]
	v_add_f64 v[6:7], v[2:3], v[4:5]
	v_add_f64 v[8:9], v[2:3], -v[6:7]
	v_fma_f64 v[2:3], v[0:1], s[76:77], v[2:3]
	v_add_f64 v[8:9], v[8:9], v[4:5]
	v_add_f64 v[6:7], v[6:7], -v[2:3]
	v_fma_f64 v[4:5], v[0:1], s[90:91], v[4:5]
	;; [unrolled: 3-line block ×3, first 2 shown]
	v_add_f64 v[61:62], v[2:3], v[4:5]
	v_add_f64 v[2:3], v[61:62], -v[2:3]
	v_add_f64 v[2:3], v[4:5], -v[2:3]
.LBB0_105:                              ;   in Loop: Header=BB0_99 Depth=2
	s_or_b64 exec, exec, s[6:7]
	v_mul_f64 v[0:1], v[57:58], v[57:58]
	v_mul_f64 v[35:36], v[61:62], v[61:62]
	s_mov_b32 s67, s1
	s_mov_b32 s65, s35
	v_fma_f64 v[0:1], v[22:23], v[22:23], v[0:1]
	v_fma_f64 v[22:23], v[59:60], v[59:60], v[0:1]
	v_mul_f64 v[0:1], v[51:52], v[59:60]
	v_div_scale_f64 v[4:5], s[6:7], v[27:28], v[27:28], -v[22:23]
	v_rcp_f64_e32 v[6:7], v[4:5]
	v_fma_f64 v[8:9], -v[4:5], v[6:7], 1.0
	v_fma_f64 v[6:7], v[6:7], v[8:9], v[6:7]
	v_fma_f64 v[8:9], -v[4:5], v[6:7], 1.0
	v_fma_f64 v[6:7], v[6:7], v[8:9], v[6:7]
	v_div_scale_f64 v[8:9], vcc, -v[22:23], v[27:28], -v[22:23]
	v_mul_f64 v[10:11], v[8:9], v[6:7]
	v_fma_f64 v[4:5], -v[4:5], v[10:11], v[8:9]
	s_nop 1
	v_div_fmas_f64 v[4:5], v[4:5], v[6:7], v[10:11]
	v_div_fixup_f64 v[4:5], v[4:5], v[27:28], -v[22:23]
	v_mul_f64 v[6:7], v[4:5], s[46:47]
	v_cmp_nlt_f64_e32 vcc, s[72:73], v[4:5]
	v_cmp_ngt_f64_e64 s[6:7], s[74:75], v[4:5]
	v_rndne_f64_e32 v[6:7], v[6:7]
	v_fma_f64 v[8:9], v[6:7], s[48:49], v[4:5]
	v_fma_f64 v[8:9], v[6:7], s[50:51], v[8:9]
	v_cvt_i32_f64_e32 v6, v[6:7]
	v_fma_f64 v[10:11], v[8:9], s[54:55], v[37:38]
	v_fma_f64 v[10:11], v[8:9], v[10:11], s[56:57]
	;; [unrolled: 1-line block ×9, first 2 shown]
	v_fma_f64 v[10:11], v[8:9], v[10:11], 1.0
	v_fma_f64 v[8:9], v[8:9], v[10:11], 1.0
	v_ldexp_f64 v[6:7], v[8:9], v6
	v_fma_f64 v[8:9], v[35:36], s[52:53], v[39:40]
	v_cndmask_b32_e32 v7, v14, v7, vcc
	s_and_b64 vcc, s[6:7], vcc
	v_cndmask_b32_e32 v4, 0, v6, vcc
	v_cndmask_b32_e64 v5, 0, v7, s[6:7]
	v_mul_f64 v[57:58], v[0:1], v[4:5]
	v_mul_f64 v[0:1], v[35:36], 0.5
	v_fma_f64 v[8:9], v[35:36], v[8:9], s[40:41]
	v_add_f64 v[4:5], -v[0:1], 1.0
	v_fma_f64 v[8:9], v[35:36], v[8:9], s[2:3]
	v_add_f64 v[6:7], -v[4:5], 1.0
	v_fma_f64 v[8:9], v[35:36], v[8:9], s[44:45]
	v_add_f64 v[0:1], v[6:7], -v[0:1]
	v_mul_f64 v[6:7], v[35:36], v[35:36]
	v_fma_f64 v[8:9], v[35:36], v[8:9], s[66:67]
	s_mov_b32 s67, s39
	v_fma_f64 v[0:1], v[61:62], -v[2:3], v[0:1]
	v_fma_f64 v[0:1], v[6:7], v[8:9], v[0:1]
	v_mul_f64 v[6:7], v[2:3], 0.5
	v_add_f64 v[59:60], v[4:5], v[0:1]
	v_fma_f64 v[0:1], v[35:36], s[4:5], v[41:42]
	v_mul_f64 v[4:5], v[61:62], -v[35:36]
	v_fma_f64 v[0:1], v[35:36], v[0:1], s[24:25]
	v_fma_f64 v[0:1], v[35:36], v[0:1], s[26:27]
	;; [unrolled: 1-line block ×4, first 2 shown]
	v_fma_f64 v[0:1], v[35:36], v[0:1], -v[2:3]
	v_and_b32_e32 v2, 1, v12
	v_cmp_eq_u32_e32 vcc, 0, v2
	v_lshlrev_b32_e32 v2, 30, v12
	v_xor_b32_e32 v2, v2, v21
	v_and_b32_e32 v2, 0x80000000, v2
	v_fma_f64 v[0:1], v[4:5], s[66:67], v[0:1]
	v_add_f64 v[0:1], v[61:62], -v[0:1]
	v_cndmask_b32_e32 v0, v59, v0, vcc
	v_cndmask_b32_e32 v1, v60, v1, vcc
	v_cmp_class_f64_e64 vcc, v[20:21], s31
	v_xor_b32_e32 v1, v1, v2
	v_cndmask_b32_e32 v0, 0, v0, vcc
	v_cndmask_b32_e32 v1, v15, v1, vcc
	v_mul_f64 v[0:1], v[57:58], v[0:1]
	v_div_scale_f64 v[2:3], s[6:7], v[22:23], v[22:23], v[0:1]
	s_mov_b64 s[6:7], 0
	v_rcp_f64_e32 v[4:5], v[2:3]
	v_fma_f64 v[6:7], -v[2:3], v[4:5], 1.0
	v_fma_f64 v[4:5], v[4:5], v[6:7], v[4:5]
	v_fma_f64 v[6:7], -v[2:3], v[4:5], 1.0
	v_fma_f64 v[4:5], v[4:5], v[6:7], v[4:5]
	v_div_scale_f64 v[6:7], vcc, v[0:1], v[22:23], v[0:1]
	v_mul_f64 v[8:9], v[6:7], v[4:5]
	v_fma_f64 v[2:3], -v[2:3], v[8:9], v[6:7]
	s_nop 1
	v_div_fmas_f64 v[2:3], v[2:3], v[4:5], v[8:9]
	v_div_fixup_f64 v[0:1], v[2:3], v[22:23], v[0:1]
	global_load_dwordx2 v[22:23], v[43:44], off offset:64
	v_add_f64 v[2:3], v[0:1], v[0:1]
	s_waitcnt vmcnt(1)
	v_fma_f64 v[31:32], v[0:1], 2.0, v[31:32]
.LBB0_106:                              ;   Parent Loop BB0_37 Depth=1
                                        ;     Parent Loop BB0_99 Depth=2
                                        ; =>    This Inner Loop Header: Depth=3
	s_waitcnt vmcnt(0)
	v_add_f64 v[20:21], v[22:23], -v[2:3]
	global_atomic_cmpswap_x2 v[0:1], v[43:44], v[20:23], off offset:64 glc
	s_waitcnt vmcnt(0)
	v_cmp_eq_u64_e32 vcc, v[0:1], v[22:23]
	v_mov_b32_e32 v23, v1
	s_or_b64 s[6:7], vcc, s[6:7]
	v_mov_b32_e32 v22, v0
	s_andn2_b64 exec, exec, s[6:7]
	s_cbranch_execnz .LBB0_106
; %bb.107:                              ;   in Loop: Header=BB0_99 Depth=2
	s_or_b64 exec, exec, s[6:7]
.LBB0_108:                              ;   Parent Loop BB0_37 Depth=1
                                        ;     Parent Loop BB0_99 Depth=2
                                        ; =>    This Inner Loop Header: Depth=3
	s_add_i32 s6, s85, 1
	s_cmp_lt_i32 s85, s30
	s_cbranch_scc0 .LBB0_110
; %bb.109:                              ;   in Loop: Header=BB0_108 Depth=3
	s_mov_b32 s85, s6
	s_mul_i32 s6, s85, s85
	s_add_i32 s6, s86, s6
	s_cmp_gt_u32 s6, s33
	s_cbranch_scc0 .LBB0_101
	s_branch .LBB0_108
.LBB0_110:                              ;   in Loop: Header=BB0_99 Depth=2
	v_readlane_b32 s86, v63, 21
.LBB0_111:                              ;   in Loop: Header=BB0_99 Depth=2
	s_add_i32 s6, s84, 1
	s_cmp_lt_i32 s84, s30
	s_cbranch_scc0 .LBB0_113
; %bb.112:                              ;   in Loop: Header=BB0_99 Depth=2
	s_mov_b32 s84, s6
	s_branch .LBB0_99
.LBB0_113:                              ;   in Loop: Header=BB0_37 Depth=1
	s_waitcnt vmcnt(1)
	buffer_store_dword v31, off, s[96:99], 0 offset:16 ; 4-byte Folded Spill
	s_waitcnt vmcnt(1)
	buffer_store_dword v32, off, s[96:99], 0 offset:20 ; 4-byte Folded Spill
	buffer_load_dword v31, off, s[96:99], 0 offset:24 ; 4-byte Folded Reload
	s_nop 0
	buffer_load_dword v32, off, s[96:99], 0 offset:28 ; 4-byte Folded Reload
.LBB0_114:                              ;   Parent Loop BB0_37 Depth=1
                                        ; =>  This Inner Loop Header: Depth=2
	s_add_i32 s6, s38, 1
	s_cmp_lg_u32 s38, s30
	s_cbranch_scc0 .LBB0_34
; %bb.115:                              ;   in Loop: Header=BB0_114 Depth=2
	s_mov_b32 s38, s6
	s_cmp_lg_u32 s38, 0
	s_cselect_b32 s84, s86, 0
	s_cmp_gt_i32 s84, s30
	s_cbranch_scc0 .LBB0_98
	s_branch .LBB0_114
.LBB0_116:
	v_readlane_b32 s44, v63, 8
	s_branch .LBB0_118
.LBB0_117:
	v_mov_b32_e32 v0, 0
	v_mov_b32_e32 v33, 0
	;; [unrolled: 1-line block ×6, first 2 shown]
	buffer_store_dword v0, off, s[96:99], 0 offset:16 ; 4-byte Folded Spill
	s_nop 0
	buffer_store_dword v1, off, s[96:99], 0 offset:20 ; 4-byte Folded Spill
.LBB0_118:
	global_load_dwordx2 v[22:23], v[24:25], off offset:48
	s_mov_b64 s[0:1], 0
.LBB0_119:                              ; =>This Inner Loop Header: Depth=1
	s_waitcnt vmcnt(0)
	v_add_f64 v[20:21], v[22:23], v[31:32]
	global_atomic_cmpswap_x2 v[2:3], v[24:25], v[20:23], off offset:48 glc
	s_waitcnt vmcnt(0)
	v_cmp_eq_u64_e32 vcc, v[2:3], v[22:23]
	v_mov_b32_e32 v23, v3
	s_or_b64 s[0:1], vcc, s[0:1]
	v_mov_b32_e32 v22, v2
	s_andn2_b64 exec, exec, s[0:1]
	s_cbranch_execnz .LBB0_119
; %bb.120:
	s_or_b64 exec, exec, s[0:1]
	global_load_dwordx2 v[22:23], v[24:25], off offset:56
	s_mov_b64 s[0:1], 0
.LBB0_121:                              ; =>This Inner Loop Header: Depth=1
	s_waitcnt vmcnt(0)
	v_add_f64 v[20:21], v[22:23], v[33:34]
	global_atomic_cmpswap_x2 v[2:3], v[24:25], v[20:23], off offset:56 glc
	s_waitcnt vmcnt(0)
	v_cmp_eq_u64_e32 vcc, v[2:3], v[22:23]
	v_mov_b32_e32 v23, v3
	s_or_b64 s[0:1], vcc, s[0:1]
	v_mov_b32_e32 v22, v2
	s_andn2_b64 exec, exec, s[0:1]
	s_cbranch_execnz .LBB0_121
; %bb.122:
	s_or_b64 exec, exec, s[0:1]
	global_load_dwordx2 v[22:23], v[24:25], off offset:64
	buffer_load_dword v0, off, s[96:99], 0 offset:16 ; 4-byte Folded Reload
	buffer_load_dword v1, off, s[96:99], 0 offset:20 ; 4-byte Folded Reload
	s_mov_b64 s[0:1], 0
.LBB0_123:                              ; =>This Inner Loop Header: Depth=1
	s_waitcnt vmcnt(0)
	v_add_f64 v[20:21], v[22:23], v[0:1]
	global_atomic_cmpswap_x2 v[2:3], v[24:25], v[20:23], off offset:64 glc
	s_waitcnt vmcnt(0)
	v_cmp_eq_u64_e32 vcc, v[2:3], v[22:23]
	v_mov_b32_e32 v23, v3
	s_or_b64 s[0:1], vcc, s[0:1]
	v_mov_b32_e32 v22, v2
	s_andn2_b64 exec, exec, s[0:1]
	s_cbranch_execnz .LBB0_123
; %bb.124:
	s_or_b64 exec, exec, s[0:1]
.LBB0_125:
	s_cmp_lg_u32 s44, 2
	s_cbranch_scc1 .LBB0_155
; %bb.126:
	v_cmp_gt_i32_e32 vcc, s87, v16
	s_and_b64 exec, exec, vcc
	s_cbranch_execz .LBB0_155
; %bb.127:
	buffer_load_dword v10, off, s[96:99], 0 offset:80 ; 4-byte Folded Reload
	buffer_load_dword v11, off, s[96:99], 0 offset:84 ; 4-byte Folded Reload
	;; [unrolled: 1-line block ×4, first 2 shown]
	v_readlane_b32 s4, v63, 0
	v_readlane_b32 s5, v63, 1
	s_load_dwordx4 s[0:3], s[4:5], 0x10
	s_load_dwordx2 s[20:21], s[4:5], 0x40
	s_mov_b32 s24, 0
	s_mov_b32 s26, 0
	;; [unrolled: 1-line block ×3, first 2 shown]
	s_waitcnt lgkmcnt(0)
	v_mul_f64 v[0:1], s[0:1], s[0:1]
	s_mov_b32 s30, 0xfefa39ef
	s_mov_b32 s34, 0x3b39803f
	;; [unrolled: 1-line block ×7, first 2 shown]
	v_div_scale_f64 v[2:3], s[0:1], v[0:1], v[0:1], 1.0
	s_mov_b32 s48, 0x11122322
	s_mov_b32 s50, 0x555502a1
	s_mov_b32 s52, 0x55555511
	s_mov_b32 s54, 11
	s_mov_b32 s56, 0
	s_mov_b32 s58, 0
	s_mov_b32 s60, 0
	s_mov_b32 s62, 0
	s_mov_b32 s64, 0
	s_mov_b64 s[22:23], 0
	s_movk_i32 s33, 0x70
	s_brev_b32 s25, 8
	s_mov_b32 s27, 0xc0080000
	s_mov_b32 s29, 0x3ff71547
	v_rcp_f64_e32 v[4:5], v[2:3]
	s_mov_b32 s31, 0xbfe62e42
	s_mov_b32 s35, 0xbc7abc9e
	;; [unrolled: 1-line block ×15, first 2 shown]
	v_fma_f64 v[6:7], -v[2:3], v[4:5], 1.0
	s_mov_b32 s65, 0xc02e0000
	v_fma_f64 v[4:5], v[4:5], v[6:7], v[4:5]
	v_div_scale_f64 v[6:7], vcc, 1.0, v[0:1], 1.0
	v_fma_f64 v[8:9], -v[2:3], v[4:5], 1.0
	v_fma_f64 v[4:5], v[4:5], v[8:9], v[4:5]
	v_mul_f64 v[8:9], v[6:7], v[4:5]
	s_waitcnt vmcnt(0)
	v_cmp_neq_f64_e64 s[0:1], 0, v[12:13]
	buffer_load_dword v10, off, s[96:99], 0 offset:64 ; 4-byte Folded Reload
	buffer_load_dword v11, off, s[96:99], 0 offset:68 ; 4-byte Folded Reload
	buffer_load_dword v12, off, s[96:99], 0 offset:72 ; 4-byte Folded Reload
	buffer_load_dword v13, off, s[96:99], 0 offset:76 ; 4-byte Folded Reload
	v_fma_f64 v[2:3], -v[2:3], v[8:9], v[6:7]
	v_mul_f64 v[6:7], s[20:21], 0.5
	v_div_fmas_f64 v[4:5], v[2:3], v[4:5], v[8:9]
	v_mul_f64 v[2:3], s[20:21], s[20:21]
	buffer_store_dword v2, off, s[96:99], 0 offset:16 ; 4-byte Folded Spill
	s_nop 0
	buffer_store_dword v3, off, s[96:99], 0 offset:20 ; 4-byte Folded Spill
	v_mul_f64 v[2:3], s[20:21], v[6:7]
	buffer_store_dword v2, off, s[96:99], 0 offset:24 ; 4-byte Folded Spill
	s_nop 0
	buffer_store_dword v3, off, s[96:99], 0 offset:28 ; 4-byte Folded Spill
	v_div_fixup_f64 v[14:15], v[4:5], v[0:1], 1.0
	v_mov_b32_e32 v0, 0xfca7ab0c
	v_mov_b32_e32 v1, 0x3e928af3
	buffer_store_dword v0, off, s[96:99], 0 offset:112 ; 4-byte Folded Spill
	s_nop 0
	buffer_store_dword v1, off, s[96:99], 0 offset:116 ; 4-byte Folded Spill
	s_waitcnt vmcnt(6)
	v_cmp_neq_f64_e64 s[2:3], 0, v[12:13]
	s_branch .LBB0_129
.LBB0_128:                              ;   in Loop: Header=BB0_129 Depth=1
	s_or_b64 exec, exec, s[66:67]
	v_add_u32_e32 v16, 1, v16
	v_cmp_le_i32_e32 vcc, s87, v16
	s_or_b64 s[22:23], vcc, s[22:23]
	s_andn2_b64 exec, exec, s[22:23]
	s_cbranch_execz .LBB0_155
.LBB0_129:                              ; =>This Loop Header: Depth=1
                                        ;     Child Loop BB0_144 Depth 2
                                        ;     Child Loop BB0_146 Depth 2
	;; [unrolled: 1-line block ×6, first 2 shown]
	v_readlane_b32 s4, v63, 6
	v_readlane_b32 s5, v63, 7
	v_mov_b32_e32 v0, s4
	v_mov_b32_e32 v1, s5
	v_mad_i64_i32 v[29:30], s[4:5], v16, s33, v[0:1]
	global_load_dword v0, v[29:30], off offset:72
	buffer_load_dword v4, off, s[96:99], 0 offset:8 ; 4-byte Folded Reload
	buffer_load_dword v5, off, s[96:99], 0 offset:12 ; 4-byte Folded Reload
	s_waitcnt vmcnt(1)
	v_cmp_ne_u32_e32 vcc, v4, v0
	s_and_saveexec_b64 s[66:67], vcc
	s_cbranch_execz .LBB0_128
; %bb.130:                              ;   in Loop: Header=BB0_129 Depth=1
	global_load_dwordx4 v[17:20], v[29:30], off
	global_load_dwordx2 v[0:1], v[29:30], off offset:16
	buffer_load_dword v4, off, s[96:99], 0 offset:48 ; 4-byte Folded Reload
	buffer_load_dword v5, off, s[96:99], 0 offset:52 ; 4-byte Folded Reload
	buffer_load_dword v6, off, s[96:99], 0 offset:56 ; 4-byte Folded Reload
	buffer_load_dword v7, off, s[96:99], 0 offset:60 ; 4-byte Folded Reload
	v_mov_b32_e32 v26, v16
	s_load_dwordx16 s[4:19], s[36:37], 0x0
	v_readlane_b32 s72, v63, 2
	v_readlane_b32 s74, v63, 4
	;; [unrolled: 1-line block ×4, first 2 shown]
	s_waitcnt vmcnt(2)
	v_add_f64 v[12:13], v[4:5], -v[17:18]
	s_waitcnt vmcnt(0)
	v_add_f64 v[20:21], v[6:7], -v[19:20]
	buffer_load_dword v16, off, s[96:99], 0 offset:32 ; 4-byte Folded Reload
	buffer_load_dword v17, off, s[96:99], 0 offset:36 ; 4-byte Folded Reload
	;; [unrolled: 1-line block ×4, first 2 shown]
	s_load_dwordx2 s[68:69], s[36:37], 0x40
	s_waitcnt lgkmcnt(0)
	v_fma_f64 v[4:5], s[4:5], v[12:13], 0
	v_fma_f64 v[6:7], s[16:17], v[12:13], 0
	;; [unrolled: 1-line block ×4, first 2 shown]
	s_waitcnt vmcnt(2)
	v_add_f64 v[22:23], v[16:17], -v[0:1]
	v_fma_f64 v[0:1], s[10:11], v[12:13], 0
	v_fma_f64 v[4:5], s[8:9], v[22:23], v[4:5]
	v_fma_f64 v[0:1], s[12:13], v[20:21], v[0:1]
	v_fma_f64 v[6:7], s[68:69], v[22:23], v[6:7]
	v_rndne_f64_e32 v[4:5], v[4:5]
	v_fma_f64 v[0:1], s[14:15], v[22:23], v[0:1]
	s_load_dwordx16 s[4:19], s[74:75], 0x0
	v_rndne_f64_e32 v[6:7], v[6:7]
	s_waitcnt lgkmcnt(0)
	v_fma_f64 v[10:11], s[10:11], v[4:5], 0
	v_rndne_f64_e32 v[0:1], v[0:1]
	v_fma_f64 v[16:17], s[4:5], v[4:5], 0
	v_fma_f64 v[4:5], s[16:17], v[4:5], 0
	s_load_dwordx2 s[4:5], s[74:75], 0x40
	v_fma_f64 v[10:11], s[12:13], v[0:1], v[10:11]
	v_fma_f64 v[16:17], s[6:7], v[0:1], v[16:17]
	;; [unrolled: 1-line block ×5, first 2 shown]
	s_waitcnt lgkmcnt(0)
	v_fma_f64 v[0:1], s[4:5], v[6:7], v[0:1]
	v_add_f64 v[31:32], v[20:21], -v[10:11]
	v_add_f64 v[35:36], v[12:13], -v[4:5]
	;; [unrolled: 1-line block ×3, first 2 shown]
	v_mul_f64 v[4:5], v[31:32], v[31:32]
	v_fma_f64 v[0:1], v[35:36], v[35:36], v[4:5]
	v_fma_f64 v[37:38], v[33:34], v[33:34], v[0:1]
	v_cmp_nle_f64_e32 vcc, 0, v[37:38]
	s_and_saveexec_b64 s[4:5], vcc
	s_cbranch_execz .LBB0_132
; %bb.131:                              ;   in Loop: Header=BB0_129 Depth=1
	v_mul_f64 v[0:1], v[20:21], v[20:21]
	v_mov_b32_e32 v34, v23
	v_mov_b32_e32 v32, v21
	v_mov_b32_e32 v36, v13
	v_mov_b32_e32 v33, v22
	v_mov_b32_e32 v31, v20
	v_mov_b32_e32 v35, v12
	v_fma_f64 v[0:1], v[12:13], v[12:13], v[0:1]
	v_fma_f64 v[37:38], v[22:23], v[22:23], v[0:1]
.LBB0_132:                              ;   in Loop: Header=BB0_129 Depth=1
	s_or_b64 exec, exec, s[4:5]
	v_cmp_gt_f64_e32 vcc, s[24:25], v[37:38]
	v_mov_b32_e32 v0, 0x100
	v_readlane_b32 s4, v63, 2
	v_readlane_b32 s5, v63, 3
	v_mov_b32_e32 v16, v26
	v_readlane_b32 s6, v63, 4
	v_readlane_b32 s7, v63, 5
	v_cndmask_b32_e32 v0, 0, v0, vcc
	v_ldexp_f64 v[0:1], v[37:38], v0
	v_rsq_f64_e32 v[4:5], v[0:1]
	v_mul_f64 v[6:7], v[0:1], v[4:5]
	v_mul_f64 v[4:5], v[4:5], 0.5
	v_fma_f64 v[10:11], -v[4:5], v[6:7], 0.5
	v_fma_f64 v[6:7], v[6:7], v[10:11], v[6:7]
	v_fma_f64 v[4:5], v[4:5], v[10:11], v[4:5]
	v_fma_f64 v[10:11], -v[6:7], v[6:7], v[0:1]
	v_fma_f64 v[6:7], v[10:11], v[4:5], v[6:7]
	v_fma_f64 v[10:11], -v[6:7], v[6:7], v[0:1]
	v_fma_f64 v[4:5], v[10:11], v[4:5], v[6:7]
	v_mov_b32_e32 v6, 0xffffff80
	v_mov_b32_e32 v7, 0x260
	v_cndmask_b32_e32 v6, 0, v6, vcc
	v_cmp_class_f64_e32 vcc, v[0:1], v7
	v_ldexp_f64 v[4:5], v[4:5], v6
	v_cndmask_b32_e32 v42, v5, v1, vcc
	v_cndmask_b32_e32 v41, v4, v0, vcc
	v_cmp_nlt_f64_e32 vcc, s[4:5], v[41:42]
	s_and_b64 s[4:5], exec, vcc
	s_mov_b64 exec, s[4:5]
	s_cbranch_execz .LBB0_128
; %bb.133:                              ;   in Loop: Header=BB0_129 Depth=1
	v_div_scale_f64 v[0:1], s[4:5], v[41:42], v[41:42], 1.0
	global_load_dwordx2 v[12:13], v[29:30], off offset:40
	global_load_dwordx4 v[59:62], v[29:30], off offset:80
	global_load_dwordx2 v[39:40], v[29:30], off offset:96
	v_div_scale_f64 v[10:11], vcc, 1.0, v[41:42], 1.0
	v_mul_f64 v[53:54], v[31:32], v[31:32]
	v_mul_f64 v[55:56], v[35:36], v[35:36]
	;; [unrolled: 1-line block ×3, first 2 shown]
	v_mov_b32_e32 v37, 0
	v_mov_b32_e32 v43, 0
	;; [unrolled: 1-line block ×6, first 2 shown]
	v_rcp_f64_e32 v[4:5], v[0:1]
	v_fma_f64 v[6:7], -v[0:1], v[4:5], 1.0
	v_fma_f64 v[4:5], v[4:5], v[6:7], v[4:5]
	v_fma_f64 v[6:7], -v[0:1], v[4:5], 1.0
	v_fma_f64 v[4:5], v[4:5], v[6:7], v[4:5]
	v_mul_f64 v[6:7], v[10:11], v[4:5]
	v_fma_f64 v[0:1], -v[0:1], v[6:7], v[10:11]
	v_div_fmas_f64 v[0:1], v[0:1], v[4:5], v[6:7]
	s_waitcnt vmcnt(2)
	v_cmp_neq_f64_e32 vcc, 0, v[12:13]
	s_and_b64 s[6:7], vcc, s[0:1]
	v_div_fixup_f64 v[45:46], v[0:1], v[41:42], 1.0
	v_mul_f64 v[51:52], v[45:46], v[45:46]
	v_mul_f64 v[47:48], v[45:46], v[51:52]
	s_and_saveexec_b64 s[4:5], s[6:7]
	s_cbranch_execnz .LBB0_136
; %bb.134:                              ;   in Loop: Header=BB0_129 Depth=1
	s_or_b64 exec, exec, s[4:5]
	s_and_saveexec_b64 s[4:5], s[2:3]
	s_cbranch_execnz .LBB0_137
.LBB0_135:                              ;   in Loop: Header=BB0_129 Depth=1
	s_or_b64 exec, exec, s[4:5]
	s_and_saveexec_b64 s[6:7], s[0:1]
	s_cbranch_execnz .LBB0_140
	s_branch .LBB0_143
.LBB0_136:                              ;   in Loop: Header=BB0_129 Depth=1
	buffer_load_dword v20, off, s[96:99], 0 offset:96 ; 4-byte Folded Reload
	buffer_load_dword v21, off, s[96:99], 0 offset:100 ; 4-byte Folded Reload
	;; [unrolled: 1-line block ×8, first 2 shown]
	v_fma_f64 v[0:1], v[55:56], -2.0, v[53:54]
	v_add_f64 v[4:5], v[53:54], v[57:58]
	v_mul_f64 v[10:11], v[14:15], v[35:36]
	v_mul_f64 v[49:50], v[47:48], v[12:13]
	v_add_f64 v[0:1], v[0:1], v[57:58]
	v_mul_f64 v[4:5], v[14:15], v[4:5]
	v_fma_f64 v[0:1], v[51:52], v[0:1], -v[4:5]
	v_mul_f64 v[4:5], v[35:36], s[26:27]
	v_mul_f64 v[6:7], v[4:5], v[31:32]
	;; [unrolled: 1-line block ×5, first 2 shown]
	v_fma_f64 v[6:7], v[10:11], v[31:32], v[6:7]
	v_fma_f64 v[12:13], v[10:11], v[33:34], v[4:5]
	v_add_f64 v[4:5], v[55:56], v[57:58]
	v_mul_f64 v[4:5], v[14:15], v[4:5]
	s_waitcnt vmcnt(6)
	v_mul_f64 v[0:1], v[20:21], v[0:1]
	s_waitcnt vmcnt(2)
	v_mov_b32_e32 v10, v16
	v_mov_b32_e32 v11, v17
	;; [unrolled: 1-line block ×3, first 2 shown]
	v_fma_f64 v[0:1], v[22:23], v[6:7], v[0:1]
	v_fma_f64 v[0:1], v[10:11], v[12:13], v[0:1]
	;; [unrolled: 1-line block ×3, first 2 shown]
	v_fma_f64 v[0:1], v[53:54], -2.0, v[55:56]
	v_add_f64 v[0:1], v[57:58], v[0:1]
	v_fma_f64 v[0:1], v[51:52], v[0:1], -v[4:5]
	v_mul_f64 v[4:5], v[14:15], v[31:32]
	v_mul_f64 v[0:1], v[22:23], v[0:1]
	v_fma_f64 v[43:44], v[20:21], v[6:7], v[0:1]
	v_mul_f64 v[0:1], v[31:32], s[26:27]
	v_mul_f64 v[0:1], v[0:1], v[33:34]
	;; [unrolled: 1-line block ×3, first 2 shown]
	v_fma_f64 v[0:1], v[4:5], v[33:34], v[0:1]
	v_fma_f64 v[4:5], v[10:11], v[0:1], v[43:44]
	v_mul_f64 v[0:1], v[22:23], v[0:1]
	v_fma_f64 v[43:44], v[4:5], v[49:50], 0
	v_fma_f64 v[12:13], v[20:21], v[12:13], v[0:1]
	v_fma_f64 v[0:1], v[57:58], -2.0, v[55:56]
	v_add_f64 v[4:5], v[55:56], v[53:54]
	v_add_f64 v[0:1], v[53:54], v[0:1]
	v_mul_f64 v[4:5], v[14:15], v[4:5]
	v_fma_f64 v[0:1], v[51:52], v[0:1], -v[4:5]
	v_fma_f64 v[0:1], v[10:11], v[0:1], v[12:13]
	v_fma_f64 v[49:50], v[0:1], v[49:50], 0
	s_or_b64 exec, exec, s[4:5]
	s_and_saveexec_b64 s[4:5], s[2:3]
	s_cbranch_execz .LBB0_135
.LBB0_137:                              ;   in Loop: Header=BB0_129 Depth=1
	global_load_dwordx2 v[0:1], v[29:30], off offset:104
	s_waitcnt vmcnt(0)
	v_cmp_neq_f64_e32 vcc, 0, v[0:1]
	s_and_saveexec_b64 s[6:7], vcc
	s_cbranch_execz .LBB0_139
; %bb.138:                              ;   in Loop: Header=BB0_129 Depth=1
	buffer_load_dword v4, off, s[96:99], 0 offset:64 ; 4-byte Folded Reload
	buffer_load_dword v5, off, s[96:99], 0 offset:68 ; 4-byte Folded Reload
	;; [unrolled: 1-line block ×4, first 2 shown]
	v_fma_f64 v[0:1], v[55:56], -2.0, v[53:54]
	s_waitcnt vmcnt(2)
	v_add_f64 v[4:5], v[53:54], v[57:58]
	v_mov_b32_e32 v17, v59
	v_mov_b32_e32 v18, v60
	;; [unrolled: 1-line block ×4, first 2 shown]
	v_mul_f64 v[10:11], v[14:15], v[35:36]
	v_add_f64 v[0:1], v[0:1], v[57:58]
	v_mul_f64 v[4:5], v[14:15], v[4:5]
	v_fma_f64 v[0:1], v[51:52], v[0:1], -v[4:5]
	v_mul_f64 v[4:5], v[35:36], s[26:27]
	s_waitcnt vmcnt(0)
	v_mul_f64 v[59:60], v[47:48], v[6:7]
	v_mul_f64 v[6:7], v[4:5], v[31:32]
	;; [unrolled: 1-line block ×5, first 2 shown]
	v_fma_f64 v[6:7], v[10:11], v[31:32], v[6:7]
	v_fma_f64 v[4:5], v[10:11], v[33:34], v[4:5]
	v_add_f64 v[10:11], v[55:56], v[57:58]
	v_mul_f64 v[12:13], v[6:7], v[19:20]
	v_mul_f64 v[10:11], v[14:15], v[10:11]
	v_fma_f64 v[0:1], v[0:1], v[17:18], v[12:13]
	v_fma_f64 v[0:1], v[4:5], v[39:40], v[0:1]
	v_fma_f64 v[37:38], -v[59:60], v[0:1], v[37:38]
	v_fma_f64 v[0:1], v[53:54], -2.0, v[55:56]
	v_add_f64 v[0:1], v[57:58], v[0:1]
	v_fma_f64 v[0:1], v[51:52], v[0:1], -v[10:11]
	v_mul_f64 v[10:11], v[14:15], v[31:32]
	v_mul_f64 v[0:1], v[0:1], v[19:20]
	v_fma_f64 v[0:1], v[6:7], v[17:18], v[0:1]
	v_mul_f64 v[6:7], v[31:32], s[26:27]
	v_mul_f64 v[6:7], v[6:7], v[33:34]
	;; [unrolled: 1-line block ×3, first 2 shown]
	v_fma_f64 v[6:7], v[10:11], v[33:34], v[6:7]
	v_fma_f64 v[0:1], v[6:7], v[39:40], v[0:1]
	v_fma_f64 v[43:44], -v[59:60], v[0:1], v[43:44]
	v_mul_f64 v[0:1], v[6:7], v[19:20]
	v_add_f64 v[6:7], v[55:56], v[53:54]
	v_fma_f64 v[0:1], v[4:5], v[17:18], v[0:1]
	v_fma_f64 v[4:5], v[57:58], -2.0, v[55:56]
	v_mul_f64 v[6:7], v[14:15], v[6:7]
	v_add_f64 v[4:5], v[53:54], v[4:5]
	v_fma_f64 v[4:5], v[51:52], v[4:5], -v[6:7]
	v_fma_f64 v[0:1], v[4:5], v[39:40], v[0:1]
	v_fma_f64 v[49:50], -v[59:60], v[0:1], v[49:50]
	v_mov_b32_e32 v62, v20
	v_mov_b32_e32 v61, v19
	;; [unrolled: 1-line block ×4, first 2 shown]
.LBB0_139:                              ;   in Loop: Header=BB0_129 Depth=1
	s_or_b64 exec, exec, s[6:7]
	s_or_b64 exec, exec, s[4:5]
	s_and_saveexec_b64 s[6:7], s[0:1]
	s_cbranch_execz .LBB0_143
.LBB0_140:                              ;   in Loop: Header=BB0_129 Depth=1
	global_load_dwordx2 v[0:1], v[29:30], off offset:104
	s_waitcnt vmcnt(0)
	v_cmp_neq_f64_e32 vcc, 0, v[0:1]
	s_and_saveexec_b64 s[8:9], vcc
	s_cbranch_execz .LBB0_142
; %bb.141:                              ;   in Loop: Header=BB0_129 Depth=1
	buffer_load_dword v27, off, s[96:99], 0 offset:16 ; 4-byte Folded Reload
	buffer_load_dword v28, off, s[96:99], 0 offset:20 ; 4-byte Folded Reload
	v_mul_f64 v[12:13], v[41:42], v[41:42]
	v_mul_f64 v[16:17], v[41:42], -s[20:21]
	v_mov_b32_e32 v53, v59
	v_mov_b32_e32 v54, v60
	;; [unrolled: 1-line block ×4, first 2 shown]
	v_mul_f64 v[0:1], v[41:42], v[12:13]
	s_waitcnt vmcnt(0)
	v_mul_f64 v[4:5], s[20:21], v[27:28]
	v_mul_f64 v[2:3], v[4:5], v[0:1]
	v_div_scale_f64 v[0:1], s[4:5], s[60:61], s[60:61], v[2:3]
	v_cmp_ngt_f64_e64 s[4:5], s[58:59], v[16:17]
	v_rcp_f64_e32 v[4:5], v[0:1]
	v_fma_f64 v[6:7], -v[0:1], v[4:5], 1.0
	v_fma_f64 v[4:5], v[4:5], v[6:7], v[4:5]
	v_div_scale_f64 v[6:7], vcc, v[2:3], s[60:61], v[2:3]
	v_fma_f64 v[10:11], -v[0:1], v[4:5], 1.0
	v_fma_f64 v[4:5], v[4:5], v[10:11], v[4:5]
	v_mul_f64 v[10:11], v[16:17], s[28:29]
	v_mul_f64 v[18:19], v[6:7], v[4:5]
	v_rndne_f64_e32 v[10:11], v[10:11]
	v_fma_f64 v[0:1], -v[0:1], v[18:19], v[6:7]
	v_fma_f64 v[6:7], v[10:11], s[30:31], v[16:17]
	v_cvt_i32_f64_e32 v24, v[10:11]
	v_div_fmas_f64 v[0:1], v[0:1], v[4:5], v[18:19]
	buffer_load_dword v4, off, s[96:99], 0 offset:112 ; 4-byte Folded Reload
	buffer_load_dword v5, off, s[96:99], 0 offset:116 ; 4-byte Folded Reload
	v_fma_f64 v[6:7], v[10:11], s[34:35], v[6:7]
	buffer_load_dword v8, off, s[96:99], 0 offset:24 ; 4-byte Folded Reload
	buffer_load_dword v9, off, s[96:99], 0 offset:28 ; 4-byte Folded Reload
	;; [unrolled: 1-line block ×6, first 2 shown]
	v_fma_f64 v[18:19], s[20:21], v[41:42], 1.0
	v_mul_f64 v[10:11], v[51:52], v[47:48]
	v_cmp_nlt_f64_e32 vcc, s[56:57], v[16:17]
	v_div_fixup_f64 v[0:1], v[0:1], s[60:61], v[2:3]
	s_waitcnt vmcnt(6)
	v_fma_f64 v[4:5], v[6:7], s[38:39], v[4:5]
	s_waitcnt vmcnt(4)
	v_fma_f64 v[8:9], v[8:9], v[12:13], v[18:19]
	s_waitcnt vmcnt(0)
	v_mul_f64 v[12:13], v[22:23], v[31:32]
	v_mul_f64 v[18:19], v[51:52], v[10:11]
	;; [unrolled: 1-line block ×3, first 2 shown]
	v_fma_f64 v[4:5], v[6:7], v[4:5], s[40:41]
	v_add_f64 v[2:3], v[8:9], v[0:1]
	v_fma_f64 v[12:13], v[20:21], v[35:36], v[12:13]
	v_mul_f64 v[18:19], v[18:19], s[64:65]
	v_fma_f64 v[4:5], v[6:7], v[4:5], s[42:43]
	v_fma_f64 v[4:5], v[6:7], v[4:5], s[44:45]
	;; [unrolled: 1-line block ×7, first 2 shown]
	v_fma_f64 v[4:5], v[6:7], v[4:5], 1.0
	v_fma_f64 v[4:5], v[6:7], v[4:5], 1.0
	v_mul_f64 v[6:7], v[31:32], v[61:62]
	v_ldexp_f64 v[4:5], v[4:5], v24
	v_fma_f64 v[6:7], v[35:36], v[59:60], v[6:7]
	buffer_load_dword v57, off, s[96:99], 0 offset:80 ; 4-byte Folded Reload
	buffer_load_dword v58, off, s[96:99], 0 offset:84 ; 4-byte Folded Reload
	;; [unrolled: 1-line block ×4, first 2 shown]
	v_mul_f64 v[24:25], v[22:23], v[55:56]
	v_fma_f64 v[51:52], v[33:34], v[39:40], v[6:7]
	v_fma_f64 v[0:1], v[20:21], v[53:54], v[24:25]
	s_waitcnt vmcnt(2)
	v_fma_f64 v[12:13], v[57:58], v[33:34], v[12:13]
	v_fma_f64 v[0:1], v[57:58], v[39:40], v[0:1]
	v_mul_f64 v[6:7], v[18:19], v[12:13]
	v_mov_b32_e32 v18, 0x7ff00000
	v_cndmask_b32_e32 v18, v18, v5, vcc
	s_and_b64 vcc, s[4:5], vcc
	v_cndmask_b32_e64 v17, 0, v18, s[4:5]
	v_cndmask_b32_e32 v16, 0, v4, vcc
	v_fma_f64 v[18:19], -v[2:3], v[16:17], 1.0
	v_fma_f64 v[24:25], -v[8:9], v[16:17], 1.0
	v_mul_f64 v[5:6], v[6:7], v[51:52]
	v_mul_f64 v[12:13], v[10:11], v[12:13]
	;; [unrolled: 1-line block ×5, first 2 shown]
	v_mul_f64 v[0:1], v[47:48], -v[0:1]
	v_fma_f64 v[4:5], v[24:25], v[6:7], v[4:5]
	v_mul_f64 v[6:7], v[41:42], 0.5
	v_fma_f64 v[24:25], s[20:21], v[45:46], v[27:28]
	v_mul_f64 v[41:42], v[45:46], v[16:17]
	v_mul_f64 v[10:11], v[18:19], v[10:11]
	;; [unrolled: 1-line block ×6, first 2 shown]
	v_fma_f64 v[45:46], v[22:23], v[10:11], v[45:46]
	v_mul_f64 v[6:7], s[20:21], v[6:7]
	v_fma_f64 v[6:7], s[20:21], v[6:7], v[24:25]
	v_mul_f64 v[24:25], v[24:25], v[16:17]
	v_mul_f64 v[6:7], v[6:7], v[16:17]
	v_fma_f64 v[16:17], v[8:9], v[41:42], -v[24:25]
	v_mul_f64 v[24:25], v[35:36], v[4:5]
	v_mul_f64 v[4:5], v[33:34], v[4:5]
	v_fma_f64 v[6:7], v[2:3], v[41:42], -v[6:7]
	v_mul_f64 v[0:1], v[16:17], v[0:1]
	v_fma_f64 v[24:25], v[20:21], v[10:11], v[24:25]
	v_fma_f64 v[4:5], v[57:58], v[10:11], v[4:5]
	v_mul_f64 v[10:11], v[12:13], v[51:52]
	v_fma_f64 v[16:17], v[18:19], v[55:56], v[45:46]
	v_fma_f64 v[12:13], v[18:19], v[53:54], v[24:25]
	buffer_load_dword v24, off, s[96:99], 0 ; 4-byte Folded Reload
	buffer_load_dword v25, off, s[96:99], 0 offset:4 ; 4-byte Folded Reload
	v_fma_f64 v[4:5], v[18:19], v[39:40], v[4:5]
	v_mul_f64 v[6:7], v[6:7], v[10:11]
	v_fma_f64 v[10:11], v[35:36], v[0:1], v[12:13]
	v_fma_f64 v[12:13], v[31:32], v[0:1], v[16:17]
	;; [unrolled: 1-line block ×3, first 2 shown]
	v_mov_b32_e32 v16, v26
	v_fma_f64 v[4:5], v[35:36], v[6:7], v[10:11]
	v_fma_f64 v[10:11], v[31:32], v[6:7], v[12:13]
	;; [unrolled: 1-line block ×3, first 2 shown]
	v_add_f64 v[37:38], v[37:38], v[4:5]
	v_add_f64 v[43:44], v[43:44], v[10:11]
	;; [unrolled: 1-line block ×3, first 2 shown]
.LBB0_142:                              ;   in Loop: Header=BB0_129 Depth=1
	s_or_b64 exec, exec, s[8:9]
.LBB0_143:                              ;   in Loop: Header=BB0_129 Depth=1
	s_or_b64 exec, exec, s[6:7]
	s_waitcnt vmcnt(0)
	global_load_dwordx2 v[22:23], v[24:25], off offset:48
	s_mov_b64 s[4:5], 0
.LBB0_144:                              ;   Parent Loop BB0_129 Depth=1
                                        ; =>  This Inner Loop Header: Depth=2
	s_waitcnt vmcnt(0)
	v_add_f64 v[20:21], v[22:23], v[37:38]
	global_atomic_cmpswap_x2 v[0:1], v[24:25], v[20:23], off offset:48 glc
	s_waitcnt vmcnt(0)
	v_cmp_eq_u64_e32 vcc, v[0:1], v[22:23]
	v_mov_b32_e32 v23, v1
	s_or_b64 s[4:5], vcc, s[4:5]
	v_mov_b32_e32 v22, v0
	s_andn2_b64 exec, exec, s[4:5]
	s_cbranch_execnz .LBB0_144
; %bb.145:                              ;   in Loop: Header=BB0_129 Depth=1
	s_or_b64 exec, exec, s[4:5]
	global_load_dwordx2 v[22:23], v[29:30], off offset:48
	s_mov_b64 s[4:5], 0
.LBB0_146:                              ;   Parent Loop BB0_129 Depth=1
                                        ; =>  This Inner Loop Header: Depth=2
	s_waitcnt vmcnt(0)
	v_add_f64 v[20:21], v[22:23], -v[37:38]
	global_atomic_cmpswap_x2 v[0:1], v[29:30], v[20:23], off offset:48 glc
	s_waitcnt vmcnt(0)
	v_cmp_eq_u64_e32 vcc, v[0:1], v[22:23]
	v_mov_b32_e32 v23, v1
	s_or_b64 s[4:5], vcc, s[4:5]
	v_mov_b32_e32 v22, v0
	s_andn2_b64 exec, exec, s[4:5]
	s_cbranch_execnz .LBB0_146
; %bb.147:                              ;   in Loop: Header=BB0_129 Depth=1
	s_or_b64 exec, exec, s[4:5]
	global_load_dwordx2 v[22:23], v[24:25], off offset:56
	s_mov_b64 s[4:5], 0
.LBB0_148:                              ;   Parent Loop BB0_129 Depth=1
                                        ; =>  This Inner Loop Header: Depth=2
	s_waitcnt vmcnt(0)
	v_add_f64 v[20:21], v[22:23], v[43:44]
	global_atomic_cmpswap_x2 v[0:1], v[24:25], v[20:23], off offset:56 glc
	s_waitcnt vmcnt(0)
	v_cmp_eq_u64_e32 vcc, v[0:1], v[22:23]
	v_mov_b32_e32 v23, v1
	s_or_b64 s[4:5], vcc, s[4:5]
	v_mov_b32_e32 v22, v0
	s_andn2_b64 exec, exec, s[4:5]
	s_cbranch_execnz .LBB0_148
; %bb.149:                              ;   in Loop: Header=BB0_129 Depth=1
	s_or_b64 exec, exec, s[4:5]
	global_load_dwordx2 v[22:23], v[29:30], off offset:56
	s_mov_b64 s[4:5], 0
.LBB0_150:                              ;   Parent Loop BB0_129 Depth=1
                                        ; =>  This Inner Loop Header: Depth=2
	s_waitcnt vmcnt(0)
	v_add_f64 v[20:21], v[22:23], -v[43:44]
	global_atomic_cmpswap_x2 v[0:1], v[29:30], v[20:23], off offset:56 glc
	s_waitcnt vmcnt(0)
	v_cmp_eq_u64_e32 vcc, v[0:1], v[22:23]
	v_mov_b32_e32 v23, v1
	s_or_b64 s[4:5], vcc, s[4:5]
	v_mov_b32_e32 v22, v0
	s_andn2_b64 exec, exec, s[4:5]
	s_cbranch_execnz .LBB0_150
; %bb.151:                              ;   in Loop: Header=BB0_129 Depth=1
	s_or_b64 exec, exec, s[4:5]
	global_load_dwordx2 v[22:23], v[24:25], off offset:64
	s_mov_b64 s[4:5], 0
.LBB0_152:                              ;   Parent Loop BB0_129 Depth=1
                                        ; =>  This Inner Loop Header: Depth=2
	s_waitcnt vmcnt(0)
	v_add_f64 v[20:21], v[22:23], v[49:50]
	global_atomic_cmpswap_x2 v[0:1], v[24:25], v[20:23], off offset:64 glc
	s_waitcnt vmcnt(0)
	v_cmp_eq_u64_e32 vcc, v[0:1], v[22:23]
	v_mov_b32_e32 v23, v1
	s_or_b64 s[4:5], vcc, s[4:5]
	v_mov_b32_e32 v22, v0
	s_andn2_b64 exec, exec, s[4:5]
	s_cbranch_execnz .LBB0_152
; %bb.153:                              ;   in Loop: Header=BB0_129 Depth=1
	s_or_b64 exec, exec, s[4:5]
	global_load_dwordx2 v[22:23], v[29:30], off offset:64
	s_mov_b64 s[4:5], 0
.LBB0_154:                              ;   Parent Loop BB0_129 Depth=1
                                        ; =>  This Inner Loop Header: Depth=2
	s_waitcnt vmcnt(0)
	v_add_f64 v[20:21], v[22:23], -v[49:50]
	global_atomic_cmpswap_x2 v[0:1], v[29:30], v[20:23], off offset:64 glc
	s_waitcnt vmcnt(0)
	v_cmp_eq_u64_e32 vcc, v[0:1], v[22:23]
	v_mov_b32_e32 v23, v1
	s_or_b64 s[4:5], vcc, s[4:5]
	v_mov_b32_e32 v22, v0
	s_andn2_b64 exec, exec, s[4:5]
	s_cbranch_execnz .LBB0_154
	s_branch .LBB0_128
.LBB0_155:
	s_endpgm
	.section	.rodata,"a",@progbits
	.p2align	6, 0x0
	.amdhsa_kernel _Z20calculateForceKernelP6atom_tidPKdS2_idiid
		.amdhsa_group_segment_fixed_size 0
		.amdhsa_private_segment_fixed_size 132
		.amdhsa_kernarg_size 328
		.amdhsa_user_sgpr_count 6
		.amdhsa_user_sgpr_private_segment_buffer 1
		.amdhsa_user_sgpr_dispatch_ptr 0
		.amdhsa_user_sgpr_queue_ptr 0
		.amdhsa_user_sgpr_kernarg_segment_ptr 1
		.amdhsa_user_sgpr_dispatch_id 0
		.amdhsa_user_sgpr_flat_scratch_init 0
		.amdhsa_user_sgpr_private_segment_size 0
		.amdhsa_uses_dynamic_stack 0
		.amdhsa_system_sgpr_private_segment_wavefront_offset 1
		.amdhsa_system_sgpr_workgroup_id_x 1
		.amdhsa_system_sgpr_workgroup_id_y 0
		.amdhsa_system_sgpr_workgroup_id_z 0
		.amdhsa_system_sgpr_workgroup_info 0
		.amdhsa_system_vgpr_workitem_id 0
		.amdhsa_next_free_vgpr 64
		.amdhsa_next_free_sgpr 100
		.amdhsa_reserve_vcc 1
		.amdhsa_reserve_flat_scratch 0
		.amdhsa_float_round_mode_32 0
		.amdhsa_float_round_mode_16_64 0
		.amdhsa_float_denorm_mode_32 3
		.amdhsa_float_denorm_mode_16_64 3
		.amdhsa_dx10_clamp 1
		.amdhsa_ieee_mode 1
		.amdhsa_fp16_overflow 0
		.amdhsa_exception_fp_ieee_invalid_op 0
		.amdhsa_exception_fp_denorm_src 0
		.amdhsa_exception_fp_ieee_div_zero 0
		.amdhsa_exception_fp_ieee_overflow 0
		.amdhsa_exception_fp_ieee_underflow 0
		.amdhsa_exception_fp_ieee_inexact 0
		.amdhsa_exception_int_div_zero 0
	.end_amdhsa_kernel
	.text
.Lfunc_end0:
	.size	_Z20calculateForceKernelP6atom_tidPKdS2_idiid, .Lfunc_end0-_Z20calculateForceKernelP6atom_tidPKdS2_idiid
                                        ; -- End function
	.set _Z20calculateForceKernelP6atom_tidPKdS2_idiid.num_vgpr, 64
	.set _Z20calculateForceKernelP6atom_tidPKdS2_idiid.num_agpr, 0
	.set _Z20calculateForceKernelP6atom_tidPKdS2_idiid.numbered_sgpr, 100
	.set _Z20calculateForceKernelP6atom_tidPKdS2_idiid.num_named_barrier, 0
	.set _Z20calculateForceKernelP6atom_tidPKdS2_idiid.private_seg_size, 132
	.set _Z20calculateForceKernelP6atom_tidPKdS2_idiid.uses_vcc, 1
	.set _Z20calculateForceKernelP6atom_tidPKdS2_idiid.uses_flat_scratch, 0
	.set _Z20calculateForceKernelP6atom_tidPKdS2_idiid.has_dyn_sized_stack, 0
	.set _Z20calculateForceKernelP6atom_tidPKdS2_idiid.has_recursion, 0
	.set _Z20calculateForceKernelP6atom_tidPKdS2_idiid.has_indirect_call, 0
	.section	.AMDGPU.csdata,"",@progbits
; Kernel info:
; codeLenInByte = 17028
; TotalNumSgprs: 104
; NumVgprs: 64
; ScratchSize: 132
; MemoryBound: 1
; FloatMode: 240
; IeeeMode: 1
; LDSByteSize: 0 bytes/workgroup (compile time only)
; SGPRBlocks: 12
; VGPRBlocks: 15
; NumSGPRsForWavesPerEU: 104
; NumVGPRsForWavesPerEU: 64
; Occupancy: 4
; WaveLimiterHint : 1
; COMPUTE_PGM_RSRC2:SCRATCH_EN: 1
; COMPUTE_PGM_RSRC2:USER_SGPR: 6
; COMPUTE_PGM_RSRC2:TRAP_HANDLER: 0
; COMPUTE_PGM_RSRC2:TGID_X_EN: 1
; COMPUTE_PGM_RSRC2:TGID_Y_EN: 0
; COMPUTE_PGM_RSRC2:TGID_Z_EN: 0
; COMPUTE_PGM_RSRC2:TIDIG_COMP_CNT: 0
	.section	.AMDGPU.gpr_maximums,"",@progbits
	.set amdgpu.max_num_vgpr, 0
	.set amdgpu.max_num_agpr, 0
	.set amdgpu.max_num_sgpr, 0
	.section	.AMDGPU.csdata,"",@progbits
	.type	__hip_cuid_d020dd4eb7dfbe09,@object ; @__hip_cuid_d020dd4eb7dfbe09
	.section	.bss,"aw",@nobits
	.globl	__hip_cuid_d020dd4eb7dfbe09
__hip_cuid_d020dd4eb7dfbe09:
	.byte	0                               ; 0x0
	.size	__hip_cuid_d020dd4eb7dfbe09, 1

	.ident	"AMD clang version 22.0.0git (https://github.com/RadeonOpenCompute/llvm-project roc-7.2.4 26084 f58b06dce1f9c15707c5f808fd002e18c2accf7e)"
	.section	".note.GNU-stack","",@progbits
	.addrsig
	.addrsig_sym __hip_cuid_d020dd4eb7dfbe09
	.amdgpu_metadata
---
amdhsa.kernels:
  - .args:
      - .address_space:  global
        .offset:         0
        .size:           8
        .value_kind:     global_buffer
      - .offset:         8
        .size:           4
        .value_kind:     by_value
      - .offset:         16
        .size:           8
        .value_kind:     by_value
      - .actual_access:  read_only
        .address_space:  global
        .offset:         24
        .size:           8
        .value_kind:     global_buffer
      - .actual_access:  read_only
        .address_space:  global
        .offset:         32
        .size:           8
        .value_kind:     global_buffer
      - .offset:         40
        .size:           4
        .value_kind:     by_value
      - .offset:         48
        .size:           8
        .value_kind:     by_value
      - .offset:         56
        .size:           4
        .value_kind:     by_value
      - .offset:         60
        .size:           4
        .value_kind:     by_value
      - .offset:         64
        .size:           8
        .value_kind:     by_value
      - .offset:         72
        .size:           4
        .value_kind:     hidden_block_count_x
      - .offset:         76
        .size:           4
        .value_kind:     hidden_block_count_y
      - .offset:         80
        .size:           4
        .value_kind:     hidden_block_count_z
      - .offset:         84
        .size:           2
        .value_kind:     hidden_group_size_x
      - .offset:         86
        .size:           2
        .value_kind:     hidden_group_size_y
      - .offset:         88
        .size:           2
        .value_kind:     hidden_group_size_z
      - .offset:         90
        .size:           2
        .value_kind:     hidden_remainder_x
      - .offset:         92
        .size:           2
        .value_kind:     hidden_remainder_y
      - .offset:         94
        .size:           2
        .value_kind:     hidden_remainder_z
      - .offset:         112
        .size:           8
        .value_kind:     hidden_global_offset_x
      - .offset:         120
        .size:           8
        .value_kind:     hidden_global_offset_y
      - .offset:         128
        .size:           8
        .value_kind:     hidden_global_offset_z
      - .offset:         136
        .size:           2
        .value_kind:     hidden_grid_dims
    .group_segment_fixed_size: 0
    .kernarg_segment_align: 8
    .kernarg_segment_size: 328
    .language:       OpenCL C
    .language_version:
      - 2
      - 0
    .max_flat_workgroup_size: 1024
    .name:           _Z20calculateForceKernelP6atom_tidPKdS2_idiid
    .private_segment_fixed_size: 132
    .sgpr_count:     104
    .sgpr_spill_count: 34
    .symbol:         _Z20calculateForceKernelP6atom_tidPKdS2_idiid.kd
    .uniform_work_group_size: 1
    .uses_dynamic_stack: false
    .vgpr_count:     64
    .vgpr_spill_count: 44
    .wavefront_size: 64
amdhsa.target:   amdgcn-amd-amdhsa--gfx906
amdhsa.version:
  - 1
  - 2
...

	.end_amdgpu_metadata
